;; amdgpu-corpus repo=ROCm/rocFFT kind=compiled arch=gfx1201 opt=O3
	.text
	.amdgcn_target "amdgcn-amd-amdhsa--gfx1201"
	.amdhsa_code_object_version 6
	.protected	fft_rtc_fwd_len945_factors_3_3_3_5_7_wgs_63_tpt_63_halfLds_dp_ip_CI_sbrr_dirReg ; -- Begin function fft_rtc_fwd_len945_factors_3_3_3_5_7_wgs_63_tpt_63_halfLds_dp_ip_CI_sbrr_dirReg
	.globl	fft_rtc_fwd_len945_factors_3_3_3_5_7_wgs_63_tpt_63_halfLds_dp_ip_CI_sbrr_dirReg
	.p2align	8
	.type	fft_rtc_fwd_len945_factors_3_3_3_5_7_wgs_63_tpt_63_halfLds_dp_ip_CI_sbrr_dirReg,@function
fft_rtc_fwd_len945_factors_3_3_3_5_7_wgs_63_tpt_63_halfLds_dp_ip_CI_sbrr_dirReg: ; @fft_rtc_fwd_len945_factors_3_3_3_5_7_wgs_63_tpt_63_halfLds_dp_ip_CI_sbrr_dirReg
; %bb.0:
	s_clause 0x2
	s_load_b64 s[12:13], s[0:1], 0x18
	s_load_b128 s[4:7], s[0:1], 0x0
	s_load_b64 s[10:11], s[0:1], 0x50
	v_mul_u32_u24_e32 v1, 0x411, v0
	v_mov_b32_e32 v3, 0
	s_delay_alu instid0(VALU_DEP_2) | instskip(NEXT) | instid1(VALU_DEP_1)
	v_lshrrev_b32_e32 v1, 16, v1
	v_add_nc_u32_e32 v5, ttmp9, v1
	v_mov_b32_e32 v1, 0
	v_mov_b32_e32 v2, 0
	;; [unrolled: 1-line block ×3, first 2 shown]
	s_wait_kmcnt 0x0
	s_load_b64 s[8:9], s[12:13], 0x0
	v_cmp_lt_u64_e64 s2, s[6:7], 2
	s_delay_alu instid0(VALU_DEP_1)
	s_and_b32 vcc_lo, exec_lo, s2
	s_cbranch_vccnz .LBB0_8
; %bb.1:
	s_load_b64 s[2:3], s[0:1], 0x10
	v_mov_b32_e32 v1, 0
	v_mov_b32_e32 v2, 0
	s_add_nc_u64 s[14:15], s[12:13], 8
	s_mov_b64 s[16:17], 1
	s_wait_kmcnt 0x0
	s_add_nc_u64 s[18:19], s[2:3], 8
	s_mov_b32 s3, 0
.LBB0_2:                                ; =>This Inner Loop Header: Depth=1
	s_load_b64 s[20:21], s[18:19], 0x0
                                        ; implicit-def: $vgpr7_vgpr8
	s_mov_b32 s2, exec_lo
	s_wait_kmcnt 0x0
	v_or_b32_e32 v4, s21, v6
	s_delay_alu instid0(VALU_DEP_1)
	v_cmpx_ne_u64_e32 0, v[3:4]
	s_wait_alu 0xfffe
	s_xor_b32 s22, exec_lo, s2
	s_cbranch_execz .LBB0_4
; %bb.3:                                ;   in Loop: Header=BB0_2 Depth=1
	s_cvt_f32_u32 s2, s20
	s_cvt_f32_u32 s23, s21
	s_sub_nc_u64 s[26:27], 0, s[20:21]
	s_wait_alu 0xfffe
	s_delay_alu instid0(SALU_CYCLE_1) | instskip(SKIP_1) | instid1(SALU_CYCLE_2)
	s_fmamk_f32 s2, s23, 0x4f800000, s2
	s_wait_alu 0xfffe
	v_s_rcp_f32 s2, s2
	s_delay_alu instid0(TRANS32_DEP_1) | instskip(SKIP_1) | instid1(SALU_CYCLE_2)
	s_mul_f32 s2, s2, 0x5f7ffffc
	s_wait_alu 0xfffe
	s_mul_f32 s23, s2, 0x2f800000
	s_wait_alu 0xfffe
	s_delay_alu instid0(SALU_CYCLE_2) | instskip(SKIP_1) | instid1(SALU_CYCLE_2)
	s_trunc_f32 s23, s23
	s_wait_alu 0xfffe
	s_fmamk_f32 s2, s23, 0xcf800000, s2
	s_cvt_u32_f32 s25, s23
	s_wait_alu 0xfffe
	s_delay_alu instid0(SALU_CYCLE_1) | instskip(SKIP_1) | instid1(SALU_CYCLE_2)
	s_cvt_u32_f32 s24, s2
	s_wait_alu 0xfffe
	s_mul_u64 s[28:29], s[26:27], s[24:25]
	s_wait_alu 0xfffe
	s_mul_hi_u32 s31, s24, s29
	s_mul_i32 s30, s24, s29
	s_mul_hi_u32 s2, s24, s28
	s_mul_i32 s33, s25, s28
	s_wait_alu 0xfffe
	s_add_nc_u64 s[30:31], s[2:3], s[30:31]
	s_mul_hi_u32 s23, s25, s28
	s_mul_hi_u32 s34, s25, s29
	s_add_co_u32 s2, s30, s33
	s_wait_alu 0xfffe
	s_add_co_ci_u32 s2, s31, s23
	s_mul_i32 s28, s25, s29
	s_add_co_ci_u32 s29, s34, 0
	s_wait_alu 0xfffe
	s_add_nc_u64 s[28:29], s[2:3], s[28:29]
	s_wait_alu 0xfffe
	v_add_co_u32 v4, s2, s24, s28
	s_delay_alu instid0(VALU_DEP_1) | instskip(SKIP_1) | instid1(VALU_DEP_1)
	s_cmp_lg_u32 s2, 0
	s_add_co_ci_u32 s25, s25, s29
	v_readfirstlane_b32 s24, v4
	s_wait_alu 0xfffe
	s_delay_alu instid0(VALU_DEP_1)
	s_mul_u64 s[26:27], s[26:27], s[24:25]
	s_wait_alu 0xfffe
	s_mul_hi_u32 s29, s24, s27
	s_mul_i32 s28, s24, s27
	s_mul_hi_u32 s2, s24, s26
	s_mul_i32 s30, s25, s26
	s_wait_alu 0xfffe
	s_add_nc_u64 s[28:29], s[2:3], s[28:29]
	s_mul_hi_u32 s23, s25, s26
	s_mul_hi_u32 s24, s25, s27
	s_wait_alu 0xfffe
	s_add_co_u32 s2, s28, s30
	s_add_co_ci_u32 s2, s29, s23
	s_mul_i32 s26, s25, s27
	s_add_co_ci_u32 s27, s24, 0
	s_wait_alu 0xfffe
	s_add_nc_u64 s[26:27], s[2:3], s[26:27]
	s_wait_alu 0xfffe
	v_add_co_u32 v4, s2, v4, s26
	s_delay_alu instid0(VALU_DEP_1) | instskip(SKIP_1) | instid1(VALU_DEP_1)
	s_cmp_lg_u32 s2, 0
	s_add_co_ci_u32 s2, s25, s27
	v_mul_hi_u32 v13, v5, v4
	s_wait_alu 0xfffe
	v_mad_co_u64_u32 v[7:8], null, v5, s2, 0
	v_mad_co_u64_u32 v[9:10], null, v6, v4, 0
	;; [unrolled: 1-line block ×3, first 2 shown]
	s_delay_alu instid0(VALU_DEP_3) | instskip(SKIP_1) | instid1(VALU_DEP_4)
	v_add_co_u32 v4, vcc_lo, v13, v7
	s_wait_alu 0xfffd
	v_add_co_ci_u32_e32 v7, vcc_lo, 0, v8, vcc_lo
	s_delay_alu instid0(VALU_DEP_2) | instskip(SKIP_1) | instid1(VALU_DEP_2)
	v_add_co_u32 v4, vcc_lo, v4, v9
	s_wait_alu 0xfffd
	v_add_co_ci_u32_e32 v4, vcc_lo, v7, v10, vcc_lo
	s_wait_alu 0xfffd
	v_add_co_ci_u32_e32 v7, vcc_lo, 0, v12, vcc_lo
	s_delay_alu instid0(VALU_DEP_2) | instskip(SKIP_1) | instid1(VALU_DEP_2)
	v_add_co_u32 v4, vcc_lo, v4, v11
	s_wait_alu 0xfffd
	v_add_co_ci_u32_e32 v9, vcc_lo, 0, v7, vcc_lo
	s_delay_alu instid0(VALU_DEP_2) | instskip(SKIP_1) | instid1(VALU_DEP_3)
	v_mul_lo_u32 v10, s21, v4
	v_mad_co_u64_u32 v[7:8], null, s20, v4, 0
	v_mul_lo_u32 v11, s20, v9
	s_delay_alu instid0(VALU_DEP_2) | instskip(NEXT) | instid1(VALU_DEP_2)
	v_sub_co_u32 v7, vcc_lo, v5, v7
	v_add3_u32 v8, v8, v11, v10
	s_delay_alu instid0(VALU_DEP_1) | instskip(SKIP_1) | instid1(VALU_DEP_1)
	v_sub_nc_u32_e32 v10, v6, v8
	s_wait_alu 0xfffd
	v_subrev_co_ci_u32_e64 v10, s2, s21, v10, vcc_lo
	v_add_co_u32 v11, s2, v4, 2
	s_wait_alu 0xf1ff
	v_add_co_ci_u32_e64 v12, s2, 0, v9, s2
	v_sub_co_u32 v13, s2, v7, s20
	v_sub_co_ci_u32_e32 v8, vcc_lo, v6, v8, vcc_lo
	s_wait_alu 0xf1ff
	v_subrev_co_ci_u32_e64 v10, s2, 0, v10, s2
	s_delay_alu instid0(VALU_DEP_3) | instskip(NEXT) | instid1(VALU_DEP_3)
	v_cmp_le_u32_e32 vcc_lo, s20, v13
	v_cmp_eq_u32_e64 s2, s21, v8
	s_wait_alu 0xfffd
	v_cndmask_b32_e64 v13, 0, -1, vcc_lo
	v_cmp_le_u32_e32 vcc_lo, s21, v10
	s_wait_alu 0xfffd
	v_cndmask_b32_e64 v14, 0, -1, vcc_lo
	v_cmp_le_u32_e32 vcc_lo, s20, v7
	;; [unrolled: 3-line block ×3, first 2 shown]
	s_wait_alu 0xfffd
	v_cndmask_b32_e64 v15, 0, -1, vcc_lo
	v_cmp_eq_u32_e32 vcc_lo, s21, v10
	s_wait_alu 0xf1ff
	s_delay_alu instid0(VALU_DEP_2)
	v_cndmask_b32_e64 v7, v15, v7, s2
	s_wait_alu 0xfffd
	v_cndmask_b32_e32 v10, v14, v13, vcc_lo
	v_add_co_u32 v13, vcc_lo, v4, 1
	s_wait_alu 0xfffd
	v_add_co_ci_u32_e32 v14, vcc_lo, 0, v9, vcc_lo
	s_delay_alu instid0(VALU_DEP_3) | instskip(SKIP_2) | instid1(VALU_DEP_3)
	v_cmp_ne_u32_e32 vcc_lo, 0, v10
	s_wait_alu 0xfffd
	v_cndmask_b32_e32 v10, v13, v11, vcc_lo
	v_cndmask_b32_e32 v8, v14, v12, vcc_lo
	v_cmp_ne_u32_e32 vcc_lo, 0, v7
	s_wait_alu 0xfffd
	s_delay_alu instid0(VALU_DEP_2)
	v_dual_cndmask_b32 v7, v4, v10 :: v_dual_cndmask_b32 v8, v9, v8
.LBB0_4:                                ;   in Loop: Header=BB0_2 Depth=1
	s_wait_alu 0xfffe
	s_and_not1_saveexec_b32 s2, s22
	s_cbranch_execz .LBB0_6
; %bb.5:                                ;   in Loop: Header=BB0_2 Depth=1
	v_cvt_f32_u32_e32 v4, s20
	s_sub_co_i32 s22, 0, s20
	s_delay_alu instid0(VALU_DEP_1) | instskip(NEXT) | instid1(TRANS32_DEP_1)
	v_rcp_iflag_f32_e32 v4, v4
	v_mul_f32_e32 v4, 0x4f7ffffe, v4
	s_delay_alu instid0(VALU_DEP_1) | instskip(SKIP_1) | instid1(VALU_DEP_1)
	v_cvt_u32_f32_e32 v4, v4
	s_wait_alu 0xfffe
	v_mul_lo_u32 v7, s22, v4
	s_delay_alu instid0(VALU_DEP_1) | instskip(NEXT) | instid1(VALU_DEP_1)
	v_mul_hi_u32 v7, v4, v7
	v_add_nc_u32_e32 v4, v4, v7
	s_delay_alu instid0(VALU_DEP_1) | instskip(NEXT) | instid1(VALU_DEP_1)
	v_mul_hi_u32 v4, v5, v4
	v_mul_lo_u32 v7, v4, s20
	v_add_nc_u32_e32 v8, 1, v4
	s_delay_alu instid0(VALU_DEP_2) | instskip(NEXT) | instid1(VALU_DEP_1)
	v_sub_nc_u32_e32 v7, v5, v7
	v_subrev_nc_u32_e32 v9, s20, v7
	v_cmp_le_u32_e32 vcc_lo, s20, v7
	s_wait_alu 0xfffd
	s_delay_alu instid0(VALU_DEP_2) | instskip(NEXT) | instid1(VALU_DEP_1)
	v_dual_cndmask_b32 v7, v7, v9 :: v_dual_cndmask_b32 v4, v4, v8
	v_cmp_le_u32_e32 vcc_lo, s20, v7
	s_delay_alu instid0(VALU_DEP_2) | instskip(SKIP_1) | instid1(VALU_DEP_1)
	v_add_nc_u32_e32 v8, 1, v4
	s_wait_alu 0xfffd
	v_dual_cndmask_b32 v7, v4, v8 :: v_dual_mov_b32 v8, v3
.LBB0_6:                                ;   in Loop: Header=BB0_2 Depth=1
	s_wait_alu 0xfffe
	s_or_b32 exec_lo, exec_lo, s2
	s_load_b64 s[22:23], s[14:15], 0x0
	s_delay_alu instid0(VALU_DEP_1)
	v_mul_lo_u32 v4, v8, s20
	v_mul_lo_u32 v11, v7, s21
	v_mad_co_u64_u32 v[9:10], null, v7, s20, 0
	s_add_nc_u64 s[16:17], s[16:17], 1
	s_add_nc_u64 s[14:15], s[14:15], 8
	s_wait_alu 0xfffe
	v_cmp_ge_u64_e64 s2, s[16:17], s[6:7]
	s_add_nc_u64 s[18:19], s[18:19], 8
	s_delay_alu instid0(VALU_DEP_2) | instskip(NEXT) | instid1(VALU_DEP_3)
	v_add3_u32 v4, v10, v11, v4
	v_sub_co_u32 v5, vcc_lo, v5, v9
	s_wait_alu 0xfffd
	s_delay_alu instid0(VALU_DEP_2) | instskip(SKIP_3) | instid1(VALU_DEP_2)
	v_sub_co_ci_u32_e32 v4, vcc_lo, v6, v4, vcc_lo
	s_and_b32 vcc_lo, exec_lo, s2
	s_wait_kmcnt 0x0
	v_mul_lo_u32 v6, s23, v5
	v_mul_lo_u32 v4, s22, v4
	v_mad_co_u64_u32 v[1:2], null, s22, v5, v[1:2]
	s_delay_alu instid0(VALU_DEP_1)
	v_add3_u32 v2, v6, v2, v4
	s_wait_alu 0xfffe
	s_cbranch_vccnz .LBB0_9
; %bb.7:                                ;   in Loop: Header=BB0_2 Depth=1
	v_dual_mov_b32 v5, v7 :: v_dual_mov_b32 v6, v8
	s_branch .LBB0_2
.LBB0_8:
	v_dual_mov_b32 v8, v6 :: v_dual_mov_b32 v7, v5
.LBB0_9:
	s_lshl_b64 s[2:3], s[6:7], 3
	v_mul_hi_u32 v3, 0x4104105, v0
	s_wait_alu 0xfffe
	s_add_nc_u64 s[2:3], s[12:13], s[2:3]
	s_load_b64 s[0:1], s[0:1], 0x20
	s_load_b64 s[2:3], s[2:3], 0x0
                                        ; implicit-def: $vgpr90
                                        ; implicit-def: $vgpr117
	s_delay_alu instid0(VALU_DEP_1) | instskip(NEXT) | instid1(VALU_DEP_1)
	v_mul_u32_u24_e32 v3, 63, v3
	v_sub_nc_u32_e32 v116, v0, v3
	s_delay_alu instid0(VALU_DEP_1)
	v_add_nc_u32_e32 v118, 63, v116
	v_add_nc_u32_e32 v60, 0xbd, v116
	;; [unrolled: 1-line block ×3, first 2 shown]
	s_wait_kmcnt 0x0
	v_cmp_gt_u64_e32 vcc_lo, s[0:1], v[7:8]
	v_mul_lo_u32 v3, s2, v8
	v_mul_lo_u32 v4, s3, v7
	v_mad_co_u64_u32 v[0:1], null, s2, v7, v[1:2]
	v_cmp_le_u64_e64 s0, s[0:1], v[7:8]
	s_delay_alu instid0(VALU_DEP_2) | instskip(NEXT) | instid1(VALU_DEP_2)
	v_add3_u32 v1, v4, v1, v3
	s_and_saveexec_b32 s1, s0
	s_wait_alu 0xfffe
	s_xor_b32 s0, exec_lo, s1
; %bb.10:
	v_add_nc_u32_e32 v90, 63, v116
	v_add_nc_u32_e32 v117, 0x7e, v116
	;; [unrolled: 1-line block ×4, first 2 shown]
; %bb.11:
	s_wait_alu 0xfffe
	s_or_saveexec_b32 s1, s0
	v_lshlrev_b64_e32 v[100:101], 4, v[0:1]
                                        ; implicit-def: $vgpr34_vgpr35
                                        ; implicit-def: $vgpr54_vgpr55
                                        ; implicit-def: $vgpr50_vgpr51
                                        ; implicit-def: $vgpr30_vgpr31
                                        ; implicit-def: $vgpr58_vgpr59
                                        ; implicit-def: $vgpr46_vgpr47
                                        ; implicit-def: $vgpr26_vgpr27
                                        ; implicit-def: $vgpr38_vgpr39
                                        ; implicit-def: $vgpr22_vgpr23
                                        ; implicit-def: $vgpr14_vgpr15
                                        ; implicit-def: $vgpr42_vgpr43
                                        ; implicit-def: $vgpr6_vgpr7
                                        ; implicit-def: $vgpr2_vgpr3
                                        ; implicit-def: $vgpr18_vgpr19
                                        ; implicit-def: $vgpr10_vgpr11
	s_wait_alu 0xfffe
	s_xor_b32 exec_lo, exec_lo, s1
	s_cbranch_execz .LBB0_13
; %bb.12:
	v_add_nc_u32_e32 v10, 0x13b, v116
	v_mad_co_u64_u32 v[0:1], null, s8, v116, 0
	v_mad_co_u64_u32 v[4:5], null, s8, v118, 0
	s_delay_alu instid0(VALU_DEP_3)
	v_mad_co_u64_u32 v[2:3], null, s8, v10, 0
	v_add_nc_u32_e32 v117, 0x7e, v116
	v_dual_mov_b32 v90, v118 :: v_dual_add_nc_u32 v53, 0x237, v116
	v_add_nc_u32_e32 v33, 0x1f8, v116
	v_add_co_u32 v54, s0, s10, v100
	v_mad_co_u64_u32 v[8:9], null, s9, v116, v[1:2]
	v_mad_co_u64_u32 v[20:21], null, s8, v117, 0
	;; [unrolled: 1-line block ×3, first 2 shown]
	v_add_nc_u32_e32 v29, 0x2f4, v116
	s_wait_alu 0xf1ff
	v_add_co_ci_u32_e64 v55, s0, s11, v101, s0
	v_mov_b32_e32 v1, v8
	v_mad_co_u64_u32 v[9:10], null, s9, v10, v[3:4]
	v_add_nc_u32_e32 v14, 0x17a, v116
	v_add_nc_u32_e32 v26, 0x1b9, v116
	s_delay_alu instid0(VALU_DEP_4) | instskip(NEXT) | instid1(VALU_DEP_4)
	v_lshlrev_b64_e32 v[0:1], 4, v[0:1]
	v_dual_mov_b32 v3, v9 :: v_dual_add_nc_u32 v56, 0x372, v116
	s_delay_alu instid0(VALU_DEP_4) | instskip(SKIP_2) | instid1(VALU_DEP_4)
	v_mad_co_u64_u32 v[12:13], null, s8, v14, 0
	v_add_nc_u32_e32 v11, 0x276, v116
	v_mad_co_u64_u32 v[22:23], null, s8, v26, 0
	v_lshlrev_b64_e32 v[2:3], 4, v[2:3]
	v_add_co_u32 v0, s0, v54, v0
	s_delay_alu instid0(VALU_DEP_4) | instskip(SKIP_4) | instid1(VALU_DEP_4)
	v_mad_co_u64_u32 v[6:7], null, s8, v11, 0
	s_wait_alu 0xf1ff
	v_add_co_ci_u32_e64 v1, s0, v55, v1, s0
	v_mad_co_u64_u32 v[24:25], null, s9, v117, v[21:22]
	v_add_co_u32 v2, s0, v54, v2
	v_mad_co_u64_u32 v[8:9], null, s9, v118, v[5:6]
	s_wait_alu 0xf1ff
	v_add_co_ci_u32_e64 v3, s0, v55, v3, s0
	s_delay_alu instid0(VALU_DEP_4) | instskip(SKIP_1) | instid1(VALU_DEP_4)
	v_mov_b32_e32 v21, v24
	v_mad_co_u64_u32 v[24:25], null, s8, v29, 0
	v_mov_b32_e32 v5, v8
	v_mad_co_u64_u32 v[9:10], null, s9, v11, v[7:8]
	v_mov_b32_e32 v8, v13
	v_add_nc_u32_e32 v10, 0x2b5, v116
	s_delay_alu instid0(VALU_DEP_4)
	v_lshlrev_b64_e32 v[4:5], 4, v[4:5]
	v_lshlrev_b64_e32 v[20:21], 4, v[20:21]
	v_mad_co_u64_u32 v[26:27], null, s9, v26, v[23:24]
	v_mov_b32_e32 v7, v9
	v_mad_co_u64_u32 v[8:9], null, s9, v14, v[8:9]
	v_mad_co_u64_u32 v[14:15], null, s8, v10, 0
	s_delay_alu instid0(VALU_DEP_3)
	v_lshlrev_b64_e32 v[6:7], 4, v[6:7]
	v_mad_co_u64_u32 v[27:28], null, s8, v60, 0
	v_mov_b32_e32 v23, v26
	v_mad_co_u64_u32 v[25:26], null, s9, v29, v[25:26]
	v_mov_b32_e32 v13, v8
	v_add_co_u32 v6, s0, v54, v6
	s_wait_alu 0xf1ff
	v_add_co_ci_u32_e64 v7, s0, v55, v7, s0
	s_delay_alu instid0(VALU_DEP_3) | instskip(SKIP_4) | instid1(VALU_DEP_4)
	v_lshlrev_b64_e32 v[12:13], 4, v[12:13]
	v_add_co_u32 v4, s0, v54, v4
	s_wait_alu 0xf1ff
	v_add_co_ci_u32_e64 v5, s0, v55, v5, s0
	v_mov_b32_e32 v26, v28
	v_add_co_u32 v12, s0, v54, v12
	s_wait_alu 0xf1ff
	v_add_co_ci_u32_e64 v13, s0, v55, v13, s0
	v_lshlrev_b64_e32 v[22:23], 4, v[22:23]
	v_mad_co_u64_u32 v[28:29], null, s9, v60, v[26:27]
	v_mad_co_u64_u32 v[29:30], null, s8, v33, 0
	v_mov_b32_e32 v9, v15
	v_lshlrev_b64_e32 v[24:25], 4, v[24:25]
	s_delay_alu instid0(VALU_DEP_4) | instskip(NEXT) | instid1(VALU_DEP_4)
	v_lshlrev_b64_e32 v[27:28], 4, v[27:28]
	v_mov_b32_e32 v26, v30
	s_delay_alu instid0(VALU_DEP_4)
	v_mad_co_u64_u32 v[15:16], null, s9, v10, v[9:10]
	s_clause 0x3
	global_load_b128 v[8:11], v[0:1], off
	global_load_b128 v[16:19], v[2:3], off
	;; [unrolled: 1-line block ×4, first 2 shown]
	v_lshlrev_b64_e32 v[14:15], 4, v[14:15]
	s_delay_alu instid0(VALU_DEP_1) | instskip(SKIP_1) | instid1(VALU_DEP_2)
	v_add_co_u32 v14, s0, v54, v14
	s_wait_alu 0xf1ff
	v_add_co_ci_u32_e64 v15, s0, v55, v15, s0
	v_add_co_u32 v20, s0, v54, v20
	s_wait_alu 0xf1ff
	v_add_co_ci_u32_e64 v21, s0, v55, v21, s0
	;; [unrolled: 3-line block ×3, first 2 shown]
	s_clause 0x3
	global_load_b128 v[40:43], v[12:13], off
	global_load_b128 v[12:15], v[14:15], off
	;; [unrolled: 1-line block ×4, first 2 shown]
	v_mad_co_u64_u32 v[30:31], null, s9, v33, v[26:27]
	v_mad_co_u64_u32 v[33:34], null, s8, v61, 0
	v_add_co_u32 v24, s0, v54, v24
	s_wait_alu 0xf1ff
	v_add_co_ci_u32_e64 v25, s0, v55, v25, s0
	v_add_co_u32 v44, s0, v54, v27
	s_delay_alu instid0(VALU_DEP_4) | instskip(SKIP_3) | instid1(VALU_DEP_3)
	v_mov_b32_e32 v27, v34
	v_lshlrev_b64_e32 v[29:30], 4, v[29:30]
	s_wait_alu 0xf1ff
	v_add_co_ci_u32_e64 v45, s0, v55, v28, s0
	v_mad_co_u64_u32 v[50:51], null, s9, v61, v[27:28]
	v_mad_co_u64_u32 v[51:52], null, s8, v56, 0
	v_dual_mov_b32 v28, v49 :: v_dual_add_nc_u32 v35, 0x333, v116
	s_delay_alu instid0(VALU_DEP_1) | instskip(NEXT) | instid1(VALU_DEP_1)
	v_mad_co_u64_u32 v[31:32], null, s8, v35, 0
	v_mov_b32_e32 v26, v32
	s_delay_alu instid0(VALU_DEP_1)
	v_mad_co_u64_u32 v[34:35], null, s9, v35, v[26:27]
	s_clause 0x1
	global_load_b128 v[24:27], v[24:25], off
	global_load_b128 v[44:47], v[44:45], off
	v_mov_b32_e32 v32, v34
	v_mov_b32_e32 v34, v50
	v_mad_co_u64_u32 v[49:50], null, s9, v53, v[28:29]
	v_mov_b32_e32 v28, v52
	v_add_co_u32 v29, s0, v54, v29
	v_lshlrev_b64_e32 v[31:32], 4, v[31:32]
	v_lshlrev_b64_e32 v[33:34], 4, v[33:34]
	s_wait_alu 0xf1ff
	v_add_co_ci_u32_e64 v30, s0, v55, v30, s0
	v_mad_co_u64_u32 v[52:53], null, s9, v56, v[28:29]
	s_delay_alu instid0(VALU_DEP_4)
	v_add_co_u32 v31, s0, v54, v31
	v_lshlrev_b64_e32 v[48:49], 4, v[48:49]
	s_wait_alu 0xf1ff
	v_add_co_ci_u32_e64 v32, s0, v55, v32, s0
	v_add_co_u32 v33, s0, v54, v33
	v_lshlrev_b64_e32 v[50:51], 4, v[51:52]
	s_wait_alu 0xf1ff
	v_add_co_ci_u32_e64 v34, s0, v55, v34, s0
	v_add_co_u32 v52, s0, v54, v48
	s_wait_alu 0xf1ff
	v_add_co_ci_u32_e64 v53, s0, v55, v49, s0
	v_add_co_u32 v62, s0, v54, v50
	s_wait_alu 0xf1ff
	v_add_co_ci_u32_e64 v63, s0, v55, v51, s0
	s_clause 0x4
	global_load_b128 v[56:59], v[29:30], off
	global_load_b128 v[28:31], v[31:32], off
	;; [unrolled: 1-line block ×5, first 2 shown]
.LBB0_13:
	s_or_b32 exec_lo, exec_lo, s1
	s_wait_loadcnt 0xc
	v_add_f64_e32 v[62:63], v[0:1], v[16:17]
	s_wait_loadcnt 0x9
	v_add_f64_e32 v[64:65], v[12:13], v[40:41]
	;; [unrolled: 2-line block ×5, first 2 shown]
	v_add_f64_e32 v[72:73], v[2:3], v[18:19]
	v_add_f64_e32 v[74:75], v[14:15], v[42:43]
	;; [unrolled: 1-line block ×6, first 2 shown]
	v_add_f64_e64 v[78:79], v[18:19], -v[2:3]
	v_add_f64_e32 v[18:19], v[18:19], v[10:11]
	v_add_f64_e64 v[86:87], v[16:17], -v[0:1]
	v_add_f64_e32 v[16:17], v[40:41], v[4:5]
	v_add_f64_e32 v[88:89], v[36:37], v[20:21]
	;; [unrolled: 1-line block ×4, first 2 shown]
	v_add_f64_e64 v[40:41], v[40:41], -v[12:13]
	v_add_f64_e64 v[36:37], v[36:37], -v[24:25]
	;; [unrolled: 1-line block ×4, first 2 shown]
	s_mov_b32 s0, 0xe8584caa
	s_mov_b32 s1, 0x3febb67a
	;; [unrolled: 1-line block ×3, first 2 shown]
	s_wait_alu 0xfffe
	s_mov_b32 s2, s0
	v_mad_u32_u24 v99, v116, 24, 0
	v_lshlrev_b32_e32 v94, 4, v116
	v_mad_i32_i24 v103, v61, 24, 0
	v_mad_i32_i24 v91, v90, 24, 0
	;; [unrolled: 1-line block ×4, first 2 shown]
	v_lshlrev_b32_e32 v96, 4, v90
	s_mov_b32 s7, 0xbfee6f0e
	s_mov_b32 s12, 0x4755a5e
	;; [unrolled: 1-line block ×5, first 2 shown]
	v_fma_f64 v[8:9], v[62:63], -0.5, v[8:9]
	v_add_f64_e64 v[62:63], v[42:43], -v[14:15]
	v_fma_f64 v[4:5], v[64:65], -0.5, v[4:5]
	v_add_f64_e64 v[64:65], v[38:39], -v[26:27]
	;; [unrolled: 2-line block ×4, first 2 shown]
	v_fma_f64 v[48:49], v[70:71], -0.5, v[48:49]
	v_add_f64_e32 v[42:43], v[42:43], v[6:7]
	v_add_f64_e32 v[58:59], v[58:59], v[46:47]
	v_fma_f64 v[70:71], v[72:73], -0.5, v[10:11]
	v_fma_f64 v[6:7], v[74:75], -0.5, v[6:7]
	v_add_f64_e32 v[38:39], v[38:39], v[22:23]
	v_fma_f64 v[22:23], v[80:81], -0.5, v[22:23]
	v_fma_f64 v[46:47], v[82:83], -0.5, v[46:47]
	v_add_f64_e32 v[54:55], v[54:55], v[50:51]
	v_fma_f64 v[50:51], v[84:85], -0.5, v[50:51]
	v_add_f64_e32 v[0:1], v[0:1], v[76:77]
	v_add_f64_e32 v[72:73], v[12:13], v[16:17]
	;; [unrolled: 1-line block ×5, first 2 shown]
	v_sub_nc_u32_e32 v92, v99, v94
	v_lshlrev_b32_e32 v13, 4, v61
	v_lshlrev_b32_e32 v10, 4, v117
	;; [unrolled: 1-line block ×3, first 2 shown]
	v_and_b32_e32 v17, 0xff, v116
	v_add_nc_u32_e32 v93, 0x800, v92
	v_add_nc_u32_e32 v97, 0x1800, v92
	v_sub_nc_u32_e32 v13, v103, v13
	v_add_nc_u32_e32 v94, 0x1000, v92
	v_sub_nc_u32_e32 v11, v91, v96
	v_sub_nc_u32_e32 v16, v95, v10
	;; [unrolled: 1-line block ×3, first 2 shown]
	v_mul_lo_u16 v98, 0xab, v17
	s_mov_b32 s16, 0x372fe950
	s_mov_b32 s17, 0x3fd3c6ef
	v_fma_f64 v[74:75], v[78:79], s[0:1], v[8:9]
	s_wait_alu 0xfffe
	v_fma_f64 v[8:9], v[78:79], s[2:3], v[8:9]
	v_fma_f64 v[76:77], v[62:63], s[0:1], v[4:5]
	;; [unrolled: 1-line block ×9, first 2 shown]
	v_add_f64_e32 v[68:69], v[2:3], v[18:19]
	v_add_f64_e32 v[14:15], v[14:15], v[42:43]
	;; [unrolled: 1-line block ×3, first 2 shown]
	v_fma_f64 v[58:59], v[86:87], s[2:3], v[70:71]
	v_fma_f64 v[80:81], v[40:41], s[2:3], v[6:7]
	;; [unrolled: 1-line block ×4, first 2 shown]
	v_add_f64_e32 v[78:79], v[26:27], v[38:39]
	v_fma_f64 v[84:85], v[36:37], s[2:3], v[22:23]
	v_fma_f64 v[22:23], v[36:37], s[0:1], v[22:23]
	;; [unrolled: 1-line block ×4, first 2 shown]
	v_add_f64_e32 v[54:55], v[34:35], v[54:55]
	v_fma_f64 v[88:89], v[52:53], s[2:3], v[50:51]
	v_fma_f64 v[50:51], v[52:53], s[0:1], v[50:51]
	v_lshrrev_b16 v19, 9, v98
	v_sub_nc_u32_e32 v96, 0, v96
	ds_store_2addr_b64 v99, v[0:1], v[74:75] offset1:1
	ds_store_b64 v99, v[8:9] offset:16
	ds_store_2addr_b64 v91, v[72:73], v[76:77] offset1:1
	ds_store_b64 v91, v[4:5] offset:16
	;; [unrolled: 2-line block ×5, first 2 shown]
	global_wb scope:SCOPE_SE
	s_wait_dscnt 0x0
	s_barrier_signal -1
	s_barrier_wait -1
	global_inv scope:SCOPE_SE
	ds_load_2addr_b64 v[24:27], v93 offset0:59 offset1:122
	ds_load_2addr_b64 v[34:37], v94 offset0:55 offset1:118
	;; [unrolled: 1-line block ×4, first 2 shown]
	ds_load_b64 v[8:9], v92
	ds_load_b64 v[6:7], v11
	;; [unrolled: 1-line block ×4, first 2 shown]
	ds_load_2addr_b64 v[46:49], v97 offset0:51 offset1:114
	ds_load_b64 v[4:5], v13
	global_wb scope:SCOPE_SE
	s_wait_dscnt 0x0
	s_barrier_signal -1
	s_barrier_wait -1
	global_inv scope:SCOPE_SE
	ds_store_2addr_b64 v99, v[68:69], v[58:59] offset1:1
	ds_store_b64 v99, v[70:71] offset:16
	ds_store_2addr_b64 v91, v[14:15], v[80:81] offset1:1
	ds_store_b64 v91, v[82:83] offset:16
	;; [unrolled: 2-line block ×3, first 2 shown]
	v_and_b32_e32 v15, 0xff, v90
	v_and_b32_e32 v14, 0xff, v117
	;; [unrolled: 1-line block ×4, first 2 shown]
	v_mul_lo_u16 v18, v19, 3
	v_mul_lo_u16 v20, 0xab, v15
	;; [unrolled: 1-line block ×4, first 2 shown]
	ds_store_2addr_b64 v102, v[30:31], v[86:87] offset1:1
	ds_store_b64 v102, v[56:57] offset:16
	v_sub_nc_u16 v18, v116, v18
	v_lshrrev_b16 v28, 9, v20
	v_lshrrev_b16 v33, 9, v21
	v_mul_u32_u24_e32 v21, 0xaaab, v23
	v_lshrrev_b16 v20, 9, v29
	v_and_b32_e32 v18, 0xff, v18
	v_mul_lo_u16 v29, v28, 3
	v_mul_lo_u16 v30, v33, 3
	v_lshrrev_b32_e32 v21, 17, v21
	v_mul_lo_u16 v31, v20, 3
	ds_store_2addr_b64 v103, v[54:55], v[88:89] offset1:1
	ds_store_b64 v103, v[50:51] offset:16
	v_sub_nc_u16 v29, v90, v29
	v_sub_nc_u16 v30, v117, v30
	v_mul_lo_u16 v32, v21, 3
	v_sub_nc_u16 v31, v60, v31
	v_lshlrev_b32_e32 v54, 5, v18
	v_and_b32_e32 v29, 0xff, v29
	v_and_b32_e32 v30, 0xff, v30
	v_sub_nc_u16 v32, v61, v32
	v_and_b32_e32 v31, 0xff, v31
	global_wb scope:SCOPE_SE
	s_wait_dscnt 0x0
	v_lshlrev_b32_e32 v58, 5, v29
	v_lshlrev_b32_e32 v59, 5, v30
	v_and_b32_e32 v32, 0xffff, v32
	s_barrier_signal -1
	s_barrier_wait -1
	global_inv scope:SCOPE_SE
	s_clause 0x3
	global_load_b128 v[50:53], v54, s[4:5]
	global_load_b128 v[54:57], v54, s[4:5] offset:16
	global_load_b128 v[62:65], v58, s[4:5]
	global_load_b128 v[66:69], v58, s[4:5] offset:16
	v_lshlrev_b32_e32 v82, 5, v31
	v_lshlrev_b32_e32 v58, 5, v32
	s_clause 0x5
	global_load_b128 v[70:73], v59, s[4:5] offset:16
	global_load_b128 v[74:77], v59, s[4:5]
	global_load_b128 v[78:81], v82, s[4:5]
	global_load_b128 v[82:85], v82, s[4:5] offset:16
	global_load_b128 v[86:89], v58, s[4:5]
	global_load_b128 v[102:105], v58, s[4:5] offset:16
	ds_load_2addr_b64 v[106:109], v93 offset0:59 offset1:122
	ds_load_2addr_b64 v[110:113], v94 offset0:55 offset1:118
	;; [unrolled: 1-line block ×5, first 2 shown]
	v_mul_lo_u16 v22, v22, 57
	v_and_b32_e32 v33, 0xffff, v33
	v_and_b32_e32 v28, 0xffff, v28
	v_lshlrev_b32_e32 v18, 3, v18
	s_wait_loadcnt_dscnt 0x904
	v_mul_f64_e32 v[58:59], v[106:107], v[52:53]
	s_wait_loadcnt_dscnt 0x803
	v_mul_f64_e32 v[98:99], v[112:113], v[56:57]
	s_wait_loadcnt 0x7
	v_mul_f64_e32 v[114:115], v[108:109], v[64:65]
	s_wait_loadcnt_dscnt 0x602
	v_mul_f64_e32 v[131:132], v[119:120], v[68:69]
	v_mul_f64_e32 v[52:53], v[24:25], v[52:53]
	;; [unrolled: 1-line block ×3, first 2 shown]
	s_wait_loadcnt 0x5
	v_mul_f64_e32 v[133:134], v[121:122], v[72:73]
	s_wait_loadcnt_dscnt 0x401
	v_mul_f64_e32 v[135:136], v[123:124], v[76:77]
	s_wait_loadcnt 0x3
	v_mul_f64_e32 v[137:138], v[125:126], v[80:81]
	s_wait_loadcnt_dscnt 0x200
	v_mul_f64_e32 v[139:140], v[127:128], v[84:85]
	v_mul_f64_e32 v[64:65], v[26:27], v[64:65]
	v_mul_f64_e32 v[68:69], v[38:39], v[68:69]
	s_wait_loadcnt 0x1
	v_mul_f64_e32 v[141:142], v[110:111], v[88:89]
	s_wait_loadcnt 0x0
	v_mul_f64_e32 v[143:144], v[129:130], v[104:105]
	v_mul_f64_e32 v[72:73], v[40:41], v[72:73]
	;; [unrolled: 1-line block ×7, first 2 shown]
	v_fma_f64 v[58:59], v[24:25], v[50:51], -v[58:59]
	v_fma_f64 v[36:37], v[36:37], v[54:55], -v[98:99]
	;; [unrolled: 1-line block ×4, first 2 shown]
	v_fma_f64 v[50:51], v[106:107], v[50:51], v[52:53]
	v_fma_f64 v[52:53], v[112:113], v[54:55], v[56:57]
	v_fma_f64 v[40:41], v[40:41], v[70:71], -v[133:134]
	v_fma_f64 v[42:43], v[42:43], v[74:75], -v[135:136]
	;; [unrolled: 1-line block ×4, first 2 shown]
	v_fma_f64 v[54:55], v[108:109], v[62:63], v[64:65]
	v_fma_f64 v[56:57], v[119:120], v[66:67], v[68:69]
	v_fma_f64 v[34:35], v[34:35], v[86:87], -v[141:142]
	v_fma_f64 v[48:49], v[48:49], v[102:103], -v[143:144]
	v_fma_f64 v[62:63], v[121:122], v[70:71], v[72:73]
	v_fma_f64 v[64:65], v[123:124], v[74:75], v[76:77]
	;; [unrolled: 1-line block ×6, first 2 shown]
	v_mul_lo_u16 v24, v17, 57
	v_and_b32_e32 v82, 0xffff, v20
	v_mul_lo_u16 v25, v15, 57
	v_mul_lo_u16 v114, v14, 57
	v_mul_u32_u24_e32 v115, 0xe38f, v23
	v_lshrrev_b16 v26, 9, v24
	v_lshrrev_b16 v24, 9, v22
	v_and_b32_e32 v22, 0xffff, v19
	v_lshrrev_b16 v27, 9, v25
	v_lshrrev_b16 v23, 9, v114
	v_lshrrev_b32_e32 v25, 19, v115
	v_mul_lo_u16 v83, v26, 9
	v_mul_lo_u16 v85, v24, 9
	v_mul_u32_u24_e32 v130, 0x48, v22
	v_mul_lo_u16 v84, v23, 9
	v_mul_lo_u16 v86, v25, 9
	v_mul_u32_u24_e32 v132, 0x48, v33
	v_mul_u32_u24_e32 v133, 0x48, v82
	v_sub_nc_u16 v22, v116, v83
	v_add_f64_e32 v[19:20], v[58:59], v[36:37]
	v_sub_nc_u16 v33, v117, v84
	v_add_f64_e32 v[74:75], v[98:99], v[38:39]
	;; [unrolled: 2-line block ×4, first 2 shown]
	ds_load_b64 v[60:61], v92
	ds_load_b64 v[82:83], v11
	;; [unrolled: 1-line block ×5, first 2 shown]
	v_add_f64_e32 v[78:79], v[44:45], v[46:47]
	v_mul_u32_u24_e32 v129, 0x48, v21
	v_add_f64_e32 v[108:109], v[54:55], v[56:57]
	v_mul_lo_u16 v21, v27, 9
	v_add_f64_e32 v[80:81], v[34:35], v[48:49]
	v_add_f64_e32 v[102:103], v[8:9], v[58:59]
	;; [unrolled: 1-line block ×3, first 2 shown]
	v_add_f64_e64 v[106:107], v[50:51], -v[52:53]
	v_add_f64_e32 v[119:120], v[66:67], v[68:69]
	v_add_f64_e32 v[110:111], v[6:7], v[98:99]
	;; [unrolled: 1-line block ×3, first 2 shown]
	v_add_f64_e64 v[127:128], v[54:55], -v[56:57]
	v_lshlrev_b32_e32 v136, 3, v31
	v_lshlrev_b32_e32 v137, 3, v32
	v_add_f64_e32 v[114:115], v[2:3], v[42:43]
	s_wait_dscnt 0x4
	v_add_f64_e32 v[31:32], v[60:61], v[50:51]
	s_wait_dscnt 0x3
	v_add_f64_e32 v[54:55], v[82:83], v[54:55]
	v_add_f64_e32 v[121:122], v[0:1], v[44:45]
	v_add_f64_e64 v[50:51], v[98:99], -v[38:39]
	v_mul_u32_u24_e32 v131, 0x48, v28
	v_sub_nc_u16 v28, v90, v21
	v_add_f64_e32 v[125:126], v[4:5], v[34:35]
	v_add_f64_e64 v[42:43], v[42:43], -v[40:41]
	v_add_f64_e64 v[44:45], v[44:45], -v[46:47]
	v_and_b32_e32 v21, 0xff, v22
	v_and_b32_e32 v22, 0xff, v28
	;; [unrolled: 1-line block ×3, first 2 shown]
	v_add_f64_e64 v[33:34], v[34:35], -v[48:49]
	v_add3_u32 v18, 0, v130, v18
	v_lshlrev_b32_e32 v138, 5, v21
	v_fma_f64 v[8:9], v[19:20], -0.5, v[8:9]
	v_and_b32_e32 v19, 0xff, v134
	v_fma_f64 v[6:7], v[74:75], -0.5, v[6:7]
	v_add_f64_e64 v[74:75], v[64:65], -v[62:63]
	v_and_b32_e32 v20, 0xffff, v135
	v_lshlrev_b32_e32 v134, 3, v29
	v_lshlrev_b32_e32 v135, 3, v30
	v_add_f64_e64 v[29:30], v[58:59], -v[36:37]
	s_wait_dscnt 0x2
	v_add_f64_e32 v[58:59], v[84:85], v[64:65]
	s_wait_dscnt 0x1
	v_add_f64_e32 v[64:65], v[86:87], v[66:67]
	v_fma_f64 v[60:61], v[104:105], -0.5, v[60:61]
	v_fma_f64 v[2:3], v[76:77], -0.5, v[2:3]
	v_add_f64_e64 v[76:77], v[66:67], -v[68:69]
	v_fma_f64 v[0:1], v[78:79], -0.5, v[0:1]
	v_add_f64_e64 v[78:79], v[70:71], -v[72:73]
	s_wait_dscnt 0x0
	v_add_f64_e32 v[66:67], v[88:89], v[70:71]
	v_fma_f64 v[70:71], v[108:109], -0.5, v[82:83]
	v_fma_f64 v[4:5], v[80:81], -0.5, v[4:5]
	;; [unrolled: 1-line block ×5, first 2 shown]
	v_add_f64_e32 v[35:36], v[102:103], v[36:37]
	v_add_f64_e32 v[37:38], v[110:111], v[38:39]
	;; [unrolled: 1-line block ×6, first 2 shown]
	v_lshlrev_b32_e32 v102, 5, v22
	v_lshlrev_b32_e32 v103, 5, v28
	v_add_f64_e32 v[48:49], v[125:126], v[48:49]
	v_lshlrev_b32_e32 v104, 5, v19
	v_lshlrev_b32_e32 v105, 5, v20
	v_add3_u32 v108, 0, v133, v136
	v_add3_u32 v109, 0, v129, v137
	global_wb scope:SCOPE_SE
	s_barrier_signal -1
	s_barrier_wait -1
	global_inv scope:SCOPE_SE
	v_fma_f64 v[86:87], v[106:107], s[0:1], v[8:9]
	v_fma_f64 v[8:9], v[106:107], s[2:3], v[8:9]
	;; [unrolled: 1-line block ×4, first 2 shown]
	v_add3_u32 v106, 0, v131, v134
	v_add3_u32 v107, 0, v132, v135
	v_and_b32_e32 v26, 0xffff, v26
	v_and_b32_e32 v27, 0xffff, v27
	v_add_f64_e32 v[56:57], v[58:59], v[62:63]
	v_add_f64_e32 v[58:59], v[64:65], v[68:69]
	v_fma_f64 v[64:65], v[29:30], s[2:3], v[60:61]
	v_fma_f64 v[60:61], v[29:30], s[0:1], v[60:61]
	;; [unrolled: 1-line block ×5, first 2 shown]
	v_add_f64_e32 v[62:63], v[66:67], v[72:73]
	v_fma_f64 v[66:67], v[50:51], s[2:3], v[70:71]
	v_fma_f64 v[50:51], v[50:51], s[0:1], v[70:71]
	;; [unrolled: 1-line block ×11, first 2 shown]
	ds_store_2addr_b64 v18, v[35:36], v[86:87] offset1:3
	ds_store_b64 v18, v[8:9] offset:48
	ds_store_2addr_b64 v106, v[37:38], v[88:89] offset1:3
	ds_store_b64 v106, v[6:7] offset:48
	ds_store_2addr_b64 v107, v[39:40], v[98:99] offset1:3
	ds_store_b64 v107, v[2:3] offset:48
	ds_store_2addr_b64 v108, v[46:47], v[74:75] offset1:3
	ds_store_b64 v108, v[0:1] offset:48
	ds_store_2addr_b64 v109, v[48:49], v[76:77] offset1:3
	ds_store_b64 v109, v[4:5] offset:48
	global_wb scope:SCOPE_SE
	s_wait_dscnt 0x0
	s_barrier_signal -1
	s_barrier_wait -1
	global_inv scope:SCOPE_SE
	ds_load_2addr_b64 v[29:32], v93 offset0:59 offset1:122
	ds_load_2addr_b64 v[33:36], v94 offset0:55 offset1:118
	;; [unrolled: 1-line block ×4, first 2 shown]
	ds_load_b64 v[8:9], v92
	ds_load_b64 v[6:7], v11
	;; [unrolled: 1-line block ×4, first 2 shown]
	ds_load_2addr_b64 v[45:48], v97 offset0:51 offset1:114
	ds_load_b64 v[2:3], v13
	global_wb scope:SCOPE_SE
	s_wait_dscnt 0x0
	s_barrier_signal -1
	s_barrier_wait -1
	global_inv scope:SCOPE_SE
	ds_store_2addr_b64 v18, v[52:53], v[64:65] offset1:3
	ds_store_b64 v18, v[60:61] offset:48
	ds_store_2addr_b64 v106, v[54:55], v[66:67] offset1:3
	ds_store_b64 v106, v[50:51] offset:48
	;; [unrolled: 2-line block ×5, first 2 shown]
	global_wb scope:SCOPE_SE
	s_wait_dscnt 0x0
	s_barrier_signal -1
	s_barrier_wait -1
	global_inv scope:SCOPE_SE
	s_clause 0x9
	global_load_b128 v[49:52], v138, s[4:5] offset:96
	global_load_b128 v[53:56], v138, s[4:5] offset:112
	;; [unrolled: 1-line block ×10, first 2 shown]
	ds_load_2addr_b64 v[102:105], v93 offset0:59 offset1:122
	ds_load_2addr_b64 v[106:109], v94 offset0:55 offset1:118
	;; [unrolled: 1-line block ×5, first 2 shown]
	v_and_b32_e32 v89, 0xffff, v23
	s_wait_loadcnt_dscnt 0x904
	v_mul_f64_e32 v[98:99], v[102:103], v[51:52]
	s_wait_loadcnt_dscnt 0x803
	v_mul_f64_e32 v[114:115], v[108:109], v[55:56]
	s_wait_loadcnt 0x7
	v_mul_f64_e32 v[127:128], v[104:105], v[59:60]
	s_wait_loadcnt_dscnt 0x602
	v_mul_f64_e32 v[129:130], v[110:111], v[63:64]
	s_wait_loadcnt 0x5
	;; [unrolled: 4-line block ×4, first 2 shown]
	v_mul_f64_e32 v[139:140], v[106:107], v[83:84]
	s_wait_loadcnt 0x0
	v_mul_f64_e32 v[141:142], v[125:126], v[87:88]
	v_mul_f64_e32 v[51:52], v[29:30], v[51:52]
	;; [unrolled: 1-line block ×11, first 2 shown]
	v_fma_f64 v[98:99], v[29:30], v[49:50], -v[98:99]
	v_fma_f64 v[35:36], v[35:36], v[53:54], -v[114:115]
	;; [unrolled: 1-line block ×10, first 2 shown]
	v_fma_f64 v[49:50], v[102:103], v[49:50], v[51:52]
	v_fma_f64 v[51:52], v[108:109], v[53:54], v[55:56]
	;; [unrolled: 1-line block ×10, first 2 shown]
	v_mul_lo_u16 v29, v17, 19
	v_mul_lo_u16 v31, v15, 19
	;; [unrolled: 1-line block ×3, first 2 shown]
	v_and_b32_e32 v123, 0xffff, v24
	v_mul_u32_u24_e32 v124, 0xd8, v25
	v_lshrrev_b16 v30, 9, v29
	v_lshrrev_b16 v31, 9, v31
	;; [unrolled: 1-line block ×3, first 2 shown]
	v_mul_u32_u24_e32 v126, 0xd8, v26
	v_mul_u32_u24_e32 v127, 0xd8, v27
	v_mul_lo_u16 v34, v30, 27
	v_mul_lo_u16 v23, v31, 27
	;; [unrolled: 1-line block ×3, first 2 shown]
	v_lshlrev_b32_e32 v128, 3, v28
	s_delay_alu instid0(VALU_DEP_4) | instskip(NEXT) | instid1(VALU_DEP_4)
	v_sub_nc_u16 v27, v116, v34
	v_sub_nc_u16 v34, v90, v23
	ds_load_b64 v[23:24], v92
	ds_load_b64 v[25:26], v11
	ds_load_b64 v[75:76], v16
	ds_load_b64 v[77:78], v12
	ds_load_b64 v[79:80], v13
	v_add_f64_e32 v[83:84], v[8:9], v[98:99]
	v_add_f64_e32 v[17:18], v[98:99], v[35:36]
	;; [unrolled: 1-line block ×4, first 2 shown]
	global_wb scope:SCOPE_SE
	s_wait_dscnt 0x0
	v_add_f64_e32 v[14:15], v[41:42], v[39:40]
	v_add_f64_e32 v[108:109], v[4:5], v[41:42]
	;; [unrolled: 1-line block ×7, first 2 shown]
	v_add_f64_e64 v[87:88], v[49:50], -v[51:52]
	v_add_f64_e32 v[85:86], v[53:54], v[55:56]
	v_add_f64_e64 v[41:42], v[41:42], -v[39:40]
	v_add_f64_e32 v[102:103], v[59:60], v[57:58]
	;; [unrolled: 2-line block ×5, first 2 shown]
	s_barrier_signal -1
	s_barrier_wait -1
	global_inv scope:SCOPE_SE
	v_fma_f64 v[8:9], v[17:18], -0.5, v[8:9]
	v_add_f64_e64 v[17:18], v[53:54], -v[55:56]
	v_fma_f64 v[6:7], v[69:70], -0.5, v[6:7]
	v_add_f64_e64 v[69:70], v[59:60], -v[57:58]
	;; [unrolled: 2-line block ×3, first 2 shown]
	v_fma_f64 v[71:72], v[71:72], -0.5, v[0:1]
	v_mul_u32_u24_e32 v15, 0xd8, v89
	v_fma_f64 v[73:74], v[73:74], -0.5, v[2:3]
	v_sub_nc_u16 v2, v117, v125
	v_mul_u32_u24_e32 v89, 0xd8, v123
	v_and_b32_e32 v0, 0xff, v27
	v_lshlrev_b32_e32 v123, 3, v21
	v_lshlrev_b32_e32 v125, 3, v22
	v_add_f64_e32 v[21:22], v[23:24], v[49:50]
	v_add_f64_e64 v[27:28], v[98:99], -v[35:36]
	v_add_f64_e32 v[49:50], v[25:26], v[53:54]
	v_add_f64_e32 v[59:60], v[75:76], v[59:60]
	v_add_f64_e32 v[61:62], v[77:78], v[61:62]
	v_fma_f64 v[23:24], v[81:82], -0.5, v[23:24]
	v_add_f64_e64 v[53:54], v[114:115], -v[37:38]
	v_fma_f64 v[25:26], v[85:86], -0.5, v[25:26]
	v_fma_f64 v[75:76], v[102:103], -0.5, v[75:76]
	v_fma_f64 v[77:78], v[106:107], -0.5, v[77:78]
	v_fma_f64 v[79:80], v[110:111], -0.5, v[79:80]
	v_and_b32_e32 v1, 0xff, v34
	v_add_f64_e32 v[34:35], v[83:84], v[35:36]
	v_add_f64_e32 v[36:37], v[104:105], v[37:38]
	;; [unrolled: 1-line block ×5, first 2 shown]
	v_lshlrev_b32_e32 v85, 6, v0
	v_add3_u32 v86, 0, v126, v123
	v_lshlrev_b32_e32 v98, 6, v1
	v_and_b32_e32 v2, 0xff, v2
	v_add3_u32 v15, 0, v15, v128
	v_lshlrev_b32_e32 v0, 3, v0
	v_lshlrev_b32_e32 v1, 3, v1
	v_fma_f64 v[81:82], v[87:88], s[0:1], v[8:9]
	v_fma_f64 v[8:9], v[87:88], s[2:3], v[8:9]
	;; [unrolled: 1-line block ×10, first 2 shown]
	v_lshlrev_b32_e32 v5, 3, v19
	v_lshlrev_b32_e32 v19, 3, v20
	v_add3_u32 v87, 0, v127, v125
	v_add_f64_e32 v[51:52], v[21:22], v[51:52]
	s_delay_alu instid0(VALU_DEP_4)
	v_add3_u32 v99, 0, v89, v5
	v_add_f64_e32 v[49:50], v[49:50], v[55:56]
	v_add_f64_e32 v[55:56], v[59:60], v[57:58]
	;; [unrolled: 1-line block ×3, first 2 shown]
	v_fma_f64 v[61:62], v[27:28], s[2:3], v[23:24]
	v_fma_f64 v[27:28], v[27:28], s[0:1], v[23:24]
	;; [unrolled: 1-line block ×4, first 2 shown]
	v_add_f64_e32 v[59:60], v[65:66], v[67:68]
	v_fma_f64 v[65:66], v[41:42], s[2:3], v[75:76]
	v_fma_f64 v[40:41], v[41:42], s[0:1], v[75:76]
	;; [unrolled: 1-line block ×6, first 2 shown]
	v_add3_u32 v102, 0, v124, v19
	ds_store_2addr_b64 v86, v[34:35], v[81:82] offset1:9
	ds_store_b64 v86, v[8:9] offset:144
	ds_store_2addr_b64 v87, v[36:37], v[83:84] offset1:9
	ds_store_b64 v87, v[6:7] offset:144
	;; [unrolled: 2-line block ×5, first 2 shown]
	global_wb scope:SCOPE_SE
	s_wait_dscnt 0x0
	s_barrier_signal -1
	s_barrier_wait -1
	global_inv scope:SCOPE_SE
	ds_load_2addr_b64 v[3:6], v92 offset1:252
	ds_load_2addr_b64 v[22:25], v93 offset0:59 offset1:122
	ds_load_2addr_b64 v[18:21], v94 offset0:55 offset1:118
	;; [unrolled: 1-line block ×3, first 2 shown]
	ds_load_b64 v[7:8], v11
	ds_load_2addr_b64 v[36:39], v93 offset0:185 offset1:248
	ds_load_2addr_b64 v[44:47], v97 offset0:51 offset1:114
	ds_load_b64 v[72:73], v12
	ds_load_b64 v[88:89], v16
	global_wb scope:SCOPE_SE
	s_wait_dscnt 0x0
	s_barrier_signal -1
	s_barrier_wait -1
	global_inv scope:SCOPE_SE
	ds_store_2addr_b64 v86, v[51:52], v[61:62] offset1:9
	ds_store_b64 v86, v[27:28] offset:144
	ds_store_2addr_b64 v87, v[49:50], v[63:64] offset1:9
	ds_store_b64 v87, v[53:54] offset:144
	;; [unrolled: 2-line block ×5, first 2 shown]
	global_wb scope:SCOPE_SE
	s_wait_dscnt 0x0
	s_barrier_signal -1
	s_barrier_wait -1
	global_inv scope:SCOPE_SE
	s_clause 0x1
	global_load_b128 v[48:51], v85, s[4:5] offset:416
	global_load_b128 v[58:61], v98, s[4:5] offset:416
	v_lshlrev_b32_e32 v9, 6, v2
	s_clause 0x9
	global_load_b128 v[68:71], v85, s[4:5] offset:384
	global_load_b128 v[76:79], v85, s[4:5] offset:400
	;; [unrolled: 1-line block ×10, first 2 shown]
	ds_load_2addr_b64 v[135:138], v94 offset0:55 offset1:118
	ds_load_b64 v[26:27], v12
	ds_load_2addr_b64 v[139:142], v93 offset0:59 offset1:122
	ds_load_2addr_b64 v[143:146], v94 offset0:181 offset1:244
	;; [unrolled: 1-line block ×4, first 2 shown]
	ds_load_2addr_b64 v[12:15], v92 offset1:252
	s_mov_b32 s2, 0x134454ff
	s_mov_b32 s3, 0x3fee6f0e
	s_wait_alu 0xfffe
	s_mov_b32 s6, s2
	v_and_b32_e32 v9, 0xffff, v30
	v_lshlrev_b32_e32 v2, 3, v2
	ds_load_b64 v[16:17], v16
	v_cmp_gt_u32_e64 s0, 9, v116
	v_mul_u32_u24_e32 v9, 0x438, v9
	s_wait_loadcnt_dscnt 0x906
	v_mul_f64_e32 v[52:53], v[26:27], v[70:71]
	s_wait_loadcnt_dscnt 0x805
	v_mul_f64_e32 v[54:55], v[141:142], v[78:79]
	;; [unrolled: 2-line block ×3, first 2 shown]
	s_wait_loadcnt 0x6
	v_mul_f64_e32 v[62:63], v[139:140], v[104:105]
	s_wait_loadcnt_dscnt 0x503
	v_mul_f64_e32 v[66:67], v[147:148], v[108:109]
	v_mul_f64_e32 v[40:41], v[135:136], v[50:51]
	;; [unrolled: 1-line block ×3, first 2 shown]
	s_wait_loadcnt_dscnt 0x402
	v_mul_f64_e32 v[74:75], v[151:152], v[112:113]
	s_wait_loadcnt_dscnt 0x301
	v_mul_f64_e32 v[80:81], v[14:15], v[121:122]
	s_wait_loadcnt 0x2
	v_mul_f64_e32 v[98:99], v[149:150], v[125:126]
	s_wait_loadcnt 0x1
	;; [unrolled: 2-line block ×3, first 2 shown]
	v_mul_f64_e32 v[155:156], v[153:154], v[133:134]
	v_mul_f64_e32 v[157:158], v[20:21], v[60:61]
	;; [unrolled: 1-line block ×12, first 2 shown]
	v_fma_f64 v[52:53], v[72:73], v[68:69], -v[52:53]
	v_fma_f64 v[60:61], v[24:25], v[76:77], -v[54:55]
	;; [unrolled: 1-line block ×3, first 2 shown]
	v_mul_f64_e32 v[24:25], v[46:47], v[133:134]
	v_fma_f64 v[56:57], v[36:37], v[106:107], -v[66:67]
	v_fma_f64 v[40:41], v[18:19], v[48:49], -v[40:41]
	v_fma_f64 v[20:21], v[20:21], v[58:59], -v[42:43]
	v_fma_f64 v[42:43], v[22:23], v[102:103], -v[62:63]
	v_fma_f64 v[62:63], v[44:45], v[110:111], -v[74:75]
	v_fma_f64 v[82:83], v[5:6], v[119:120], -v[80:81]
	v_fma_f64 v[72:73], v[38:39], v[123:124], -v[98:99]
	v_fma_f64 v[74:75], v[32:33], v[127:128], -v[114:115]
	v_fma_f64 v[80:81], v[46:47], v[131:132], -v[155:156]
	v_fma_f64 v[66:67], v[141:142], v[76:77], v[78:79]
	v_fma_f64 v[18:19], v[145:146], v[84:85], v[86:87]
	;; [unrolled: 1-line block ×11, first 2 shown]
	v_add_f64_e32 v[38:39], v[3:4], v[52:53]
	v_add_f64_e64 v[106:107], v[60:61], -v[52:53]
	v_add_f64_e32 v[26:27], v[52:53], v[64:65]
	v_fma_f64 v[84:85], v[153:154], v[131:132], v[24:25]
	v_add_f64_e32 v[5:6], v[60:61], v[40:41]
	v_add_f64_e32 v[32:33], v[56:57], v[20:21]
	;; [unrolled: 1-line block ×3, first 2 shown]
	v_add_f64_e64 v[104:105], v[64:65], -v[40:41]
	v_add_f64_e32 v[24:25], v[82:83], v[62:63]
	v_add_f64_e32 v[48:49], v[7:8], v[82:83]
	;; [unrolled: 1-line block ×4, first 2 shown]
	v_add_f64_e64 v[108:109], v[40:41], -v[64:65]
	v_add_f64_e64 v[114:115], v[56:57], -v[82:83]
	;; [unrolled: 1-line block ×12, first 2 shown]
	v_add_f64_e32 v[38:39], v[38:39], v[60:61]
	v_add_f64_e64 v[102:103], v[70:71], -v[84:85]
	v_fma_f64 v[5:6], v[5:6], -0.5, v[3:4]
	v_fma_f64 v[3:4], v[26:27], -0.5, v[3:4]
	v_add_f64_e64 v[26:27], v[78:79], -v[22:23]
	v_fma_f64 v[32:33], v[32:33], -0.5, v[7:8]
	v_fma_f64 v[7:8], v[24:25], -0.5, v[7:8]
	;; [unrolled: 3-line block ×3, first 2 shown]
	v_add_f64_e64 v[88:89], v[52:53], -v[60:61]
	v_add_f64_e32 v[48:49], v[48:49], v[56:57]
	v_add_f64_e32 v[50:51], v[50:51], v[72:73]
	;; [unrolled: 1-line block ×3, first 2 shown]
	v_fma_f64 v[129:130], v[44:45], s[2:3], v[5:6]
	s_wait_alu 0xfffe
	v_fma_f64 v[131:132], v[46:47], s[6:7], v[3:4]
	v_fma_f64 v[3:4], v[46:47], s[2:3], v[3:4]
	;; [unrolled: 1-line block ×11, first 2 shown]
	v_add_f64_e32 v[88:89], v[88:89], v[104:105]
	v_add_f64_e32 v[104:105], v[106:107], v[108:109]
	v_add_f64_e32 v[108:109], v[114:115], v[119:120]
	v_add_f64_e32 v[48:49], v[48:49], v[20:21]
	v_add_f64_e32 v[50:51], v[50:51], v[74:75]
	v_add_f64_e32 v[106:107], v[110:111], v[112:113]
	v_add_f64_e32 v[110:111], v[121:122], v[123:124]
	v_add_f64_e32 v[112:113], v[125:126], v[127:128]
	v_fma_f64 v[114:115], v[46:47], s[12:13], v[129:130]
	v_fma_f64 v[119:120], v[44:45], s[12:13], v[131:132]
	;; [unrolled: 1-line block ×12, first 2 shown]
	v_add_f64_e32 v[34:35], v[38:39], v[64:65]
	v_add_f64_e32 v[38:39], v[48:49], v[62:63]
	;; [unrolled: 1-line block ×3, first 2 shown]
	v_fma_f64 v[50:51], v[88:89], s[16:17], v[114:115]
	v_fma_f64 v[114:115], v[104:105], s[16:17], v[119:120]
	;; [unrolled: 1-line block ×4, first 2 shown]
	ds_load_b64 v[88:89], v11
	v_fma_f64 v[44:45], v[106:107], s[16:17], v[44:45]
	v_fma_f64 v[46:47], v[108:109], s[16:17], v[46:47]
	;; [unrolled: 1-line block ×8, first 2 shown]
	v_and_b32_e32 v24, 0xffff, v31
	v_and_b32_e32 v25, 0xffff, v29
	v_add3_u32 v111, 0, v9, v0
	v_add_nc_u32_e32 v98, 0x400, v92
	v_add_nc_u32_e32 v99, 0xc00, v92
	v_mul_u32_u24_e32 v24, 0x438, v24
	v_mul_u32_u24_e32 v25, 0x438, v25
	v_add_nc_u32_e32 v108, 0x1400, v92
	global_wb scope:SCOPE_SE
	s_wait_dscnt 0x0
	s_barrier_signal -1
	v_add3_u32 v110, 0, v24, v1
	v_add3_u32 v109, 0, v25, v2
	s_barrier_wait -1
	global_inv scope:SCOPE_SE
	ds_store_2addr_b64 v111, v[34:35], v[50:51] offset1:27
	ds_store_2addr_b64 v111, v[114:115], v[3:4] offset0:54 offset1:81
	ds_store_b64 v111, v[5:6] offset:864
	ds_store_2addr_b64 v110, v[38:39], v[44:45] offset1:27
	ds_store_2addr_b64 v110, v[46:47], v[7:8] offset0:54 offset1:81
	ds_store_b64 v110, v[32:33] offset:864
	;; [unrolled: 3-line block ×3, first 2 shown]
	global_wb scope:SCOPE_SE
	s_wait_dscnt 0x0
	s_barrier_signal -1
	s_barrier_wait -1
	global_inv scope:SCOPE_SE
	ds_load_2addr_b64 v[24:27], v92 offset1:135
	ds_load_2addr_b64 v[44:47], v98 offset0:70 offset1:142
	ds_load_2addr_b64 v[36:39], v93 offset0:77 offset1:149
	;; [unrolled: 1-line block ×3, first 2 shown]
	ds_load_b64 v[106:107], v11
	ds_load_b64 v[112:113], v92 offset:6984
	ds_load_2addr_b64 v[32:35], v94 offset0:91 offset1:163
	ds_load_2addr_b64 v[48:51], v108 offset0:98 offset1:170
	v_sub_nc_u32_e32 v0, 0, v10
                                        ; implicit-def: $vgpr6_vgpr7
                                        ; implicit-def: $vgpr2_vgpr3
                                        ; implicit-def: $vgpr10_vgpr11
	s_delay_alu instid0(VALU_DEP_1)
	v_add_nc_u32_e32 v95, v95, v0
	s_and_saveexec_b32 s1, s0
	s_cbranch_execz .LBB0_15
; %bb.14:
	ds_load_b64 v[102:103], v95
	ds_load_2addr_b64 v[8:11], v93 offset0:5 offset1:140
	ds_load_2addr_b64 v[0:3], v94 offset0:19 offset1:154
	;; [unrolled: 1-line block ×3, first 2 shown]
.LBB0_15:
	s_wait_alu 0xfffe
	s_or_b32 exec_lo, exec_lo, s1
	v_add_f64_e32 v[104:105], v[66:67], v[54:55]
	v_add_f64_e32 v[114:115], v[76:77], v[18:19]
	;; [unrolled: 1-line block ×7, first 2 shown]
	v_add_f64_e64 v[52:53], v[52:53], -v[64:65]
	v_add_f64_e64 v[40:41], v[60:61], -v[40:41]
	v_add_f64_e32 v[60:61], v[88:89], v[78:79]
	v_add_f64_e32 v[64:65], v[16:17], v[70:71]
	v_add_f64_e64 v[62:63], v[82:83], -v[62:63]
	v_add_f64_e64 v[20:21], v[56:57], -v[20:21]
	;; [unrolled: 1-line block ×8, first 2 shown]
	global_wb scope:SCOPE_SE
	s_wait_dscnt 0x0
	s_barrier_signal -1
	s_barrier_wait -1
	global_inv scope:SCOPE_SE
	v_fma_f64 v[104:105], v[104:105], -0.5, v[12:13]
	v_fma_f64 v[12:13], v[114:115], -0.5, v[12:13]
	v_fma_f64 v[56:57], v[119:120], -0.5, v[88:89]
	v_fma_f64 v[80:81], v[121:122], -0.5, v[88:89]
	v_fma_f64 v[74:75], v[123:124], -0.5, v[16:17]
	v_fma_f64 v[16:17], v[125:126], -0.5, v[16:17]
	v_add_f64_e64 v[88:89], v[18:19], -v[54:55]
	v_add_f64_e64 v[125:126], v[70:71], -v[14:15]
	;; [unrolled: 1-line block ×3, first 2 shown]
	v_add_f64_e32 v[66:67], v[127:128], v[66:67]
	v_add_f64_e32 v[60:61], v[60:61], v[68:69]
	;; [unrolled: 1-line block ×3, first 2 shown]
	v_add_f64_e64 v[114:115], v[54:55], -v[18:19]
	v_add_f64_e64 v[119:120], v[78:79], -v[68:69]
	;; [unrolled: 1-line block ×5, first 2 shown]
	v_fma_f64 v[64:65], v[52:53], s[6:7], v[104:105]
	v_fma_f64 v[68:69], v[52:53], s[2:3], v[104:105]
	;; [unrolled: 1-line block ×12, first 2 shown]
	v_add_f64_e32 v[82:83], v[82:83], v[88:89]
	v_add_f64_e32 v[54:55], v[66:67], v[54:55]
	;; [unrolled: 1-line block ×9, first 2 shown]
	v_fma_f64 v[60:61], v[40:41], s[14:15], v[64:65]
	v_fma_f64 v[40:41], v[40:41], s[12:13], v[68:69]
	;; [unrolled: 1-line block ×12, first 2 shown]
	v_add_nc_u32_e32 v72, v91, v96
	v_add_f64_e32 v[18:19], v[54:55], v[18:19]
	v_add_f64_e32 v[22:23], v[58:59], v[22:23]
	v_add_f64_e32 v[14:15], v[14:15], v[84:85]
	v_fma_f64 v[54:55], v[82:83], s[16:17], v[60:61]
	v_fma_f64 v[40:41], v[82:83], s[16:17], v[40:41]
	;; [unrolled: 1-line block ×12, first 2 shown]
	ds_store_2addr_b64 v111, v[18:19], v[54:55] offset1:27
	ds_store_2addr_b64 v111, v[58:59], v[12:13] offset0:54 offset1:81
	ds_store_b64 v111, v[40:41] offset:864
	ds_store_2addr_b64 v110, v[22:23], v[52:53] offset1:27
	ds_store_2addr_b64 v110, v[56:57], v[60:61] offset0:54 offset1:81
	ds_store_b64 v110, v[20:21] offset:864
	ds_store_2addr_b64 v109, v[14:15], v[62:63] offset1:27
	ds_store_2addr_b64 v109, v[64:65], v[16:17] offset0:54 offset1:81
	ds_store_b64 v109, v[104:105] offset:864
	global_wb scope:SCOPE_SE
	s_wait_dscnt 0x0
	s_barrier_signal -1
	s_barrier_wait -1
	global_inv scope:SCOPE_SE
	ds_load_2addr_b64 v[40:43], v92 offset1:135
	ds_load_2addr_b64 v[64:67], v98 offset0:70 offset1:142
	ds_load_2addr_b64 v[60:63], v93 offset0:77 offset1:149
	;; [unrolled: 1-line block ×5, first 2 shown]
	ds_load_b64 v[110:111], v72
	ds_load_b64 v[114:115], v92 offset:6984
                                        ; implicit-def: $vgpr18_vgpr19
                                        ; implicit-def: $vgpr14_vgpr15
                                        ; implicit-def: $vgpr22_vgpr23
	s_and_saveexec_b32 s1, s0
	s_cbranch_execz .LBB0_17
; %bb.16:
	v_add_nc_u32_e32 v12, 0x800, v92
	v_add_nc_u32_e32 v13, 0x1000, v92
	;; [unrolled: 1-line block ×3, first 2 shown]
	ds_load_b64 v[104:105], v95
	ds_load_2addr_b64 v[20:23], v12 offset0:5 offset1:140
	ds_load_2addr_b64 v[12:15], v13 offset0:19 offset1:154
	;; [unrolled: 1-line block ×3, first 2 shown]
.LBB0_17:
	s_wait_alu 0xfffe
	s_or_b32 exec_lo, exec_lo, s1
	s_and_saveexec_b32 s1, vcc_lo
	s_cbranch_execz .LBB0_20
; %bb.18:
	v_mul_u32_u24_e32 v72, 6, v116
	v_mul_i32_i24_e32 v108, 6, v90
	v_mad_co_u64_u32 v[139:140], null, s8, v116, 0
	v_add_nc_u32_e32 v175, 0x369, v116
	s_delay_alu instid0(VALU_DEP_4)
	v_dual_mov_b32 v109, 0 :: v_dual_lshlrev_b32 v74, 4, v72
	v_add_nc_u32_e32 v165, 0x10e, v116
	v_mad_co_u64_u32 v[143:144], null, s8, v118, 0
	global_load_b128 v[119:122], v74, s[4:5] offset:2192
	v_lshlrev_b64_e32 v[72:73], 4, v[108:109]
	s_clause 0x1
	global_load_b128 v[123:126], v74, s[4:5] offset:2128
	global_load_b128 v[127:130], v74, s[4:5] offset:2176
	v_add_nc_u32_e32 v108, 0x87, v116
	s_mov_b32 s14, 0xe976ee23
	s_mov_b32 s16, 0x37e14327
	;; [unrolled: 1-line block ×3, first 2 shown]
	v_add_co_u32 v72, vcc_lo, s4, v72
	s_wait_alu 0xfffd
	v_add_co_ci_u32_e32 v73, vcc_lo, s5, v73, vcc_lo
	s_mov_b32 s15, 0xbfe11646
	s_clause 0x8
	global_load_b128 v[131:134], v74, s[4:5] offset:2112
	global_load_b128 v[135:138], v[72:73], off offset:2176
	global_load_b128 v[88:91], v[72:73], off offset:2112
	;; [unrolled: 1-line block ×4, first 2 shown]
	global_load_b128 v[84:87], v74, s[4:5] offset:2144
	global_load_b128 v[80:83], v74, s[4:5] offset:2160
	global_load_b128 v[76:79], v[72:73], off offset:2144
	global_load_b128 v[72:75], v[72:73], off offset:2160
	s_mov_b32 s17, 0x3fe948f6
	s_mov_b32 s27, 0x3febfeb5
	;; [unrolled: 1-line block ×11, first 2 shown]
	s_wait_alu 0xfffe
	s_mov_b32 s24, s6
	s_mov_b32 s21, 0x3fe77f67
	;; [unrolled: 1-line block ×3, first 2 shown]
	v_add_co_u32 v100, vcc_lo, s10, v100
	s_wait_alu 0xfffd
	v_add_co_ci_u32_e32 v101, vcc_lo, s11, v101, vcc_lo
	s_mov_b32 s2, 0x37c3f68c
	s_mov_b32 s3, 0x3fdc38aa
	s_wait_loadcnt_dscnt 0xb02
	v_mul_f64_e32 v[141:142], v[70:71], v[121:122]
	s_wait_loadcnt 0xa
	v_mul_f64_e32 v[145:146], v[66:67], v[125:126]
	v_mul_f64_e32 v[125:126], v[46:47], v[125:126]
	v_mul_f64_e32 v[121:122], v[50:51], v[121:122]
	s_wait_loadcnt 0x9
	v_mul_f64_e32 v[147:148], v[58:59], v[129:130]
	v_mul_f64_e32 v[129:130], v[34:35], v[129:130]
	s_wait_loadcnt 0x8
	v_mul_f64_e32 v[149:150], v[42:43], v[133:134]
	v_mul_f64_e32 v[133:134], v[26:27], v[133:134]
	s_wait_loadcnt 0x7
	v_mul_f64_e32 v[151:152], v[68:69], v[137:138]
	v_mul_f64_e32 v[137:138], v[48:49], v[137:138]
	s_wait_loadcnt 0x6
	v_mul_f64_e32 v[157:158], v[44:45], v[90:91]
	s_wait_loadcnt 0x5
	v_mul_f64_e32 v[161:162], v[36:37], v[94:95]
	;; [unrolled: 2-line block ×3, first 2 shown]
	v_mul_f64_e32 v[90:91], v[64:65], v[90:91]
	v_mul_f64_e32 v[94:95], v[60:61], v[94:95]
	s_wait_dscnt 0x0
	v_mul_f64_e32 v[98:99], v[114:115], v[98:99]
	v_fma_f64 v[50:51], v[50:51], v[119:120], -v[141:142]
	v_fma_f64 v[46:47], v[46:47], v[123:124], -v[145:146]
	v_fma_f64 v[66:67], v[66:67], v[123:124], v[125:126]
	s_wait_loadcnt 0x3
	v_mul_f64_e32 v[123:124], v[62:63], v[86:87]
	v_mul_f64_e32 v[86:87], v[38:39], v[86:87]
	v_fma_f64 v[70:71], v[70:71], v[119:120], v[121:122]
	s_wait_loadcnt 0x2
	v_mul_f64_e32 v[125:126], v[54:55], v[82:83]
	v_fma_f64 v[34:35], v[34:35], v[127:128], -v[147:148]
	v_fma_f64 v[58:59], v[58:59], v[127:128], v[129:130]
	v_mul_f64_e32 v[82:83], v[30:31], v[82:83]
	v_fma_f64 v[26:27], v[26:27], v[131:132], -v[149:150]
	v_fma_f64 v[42:43], v[42:43], v[131:132], v[133:134]
	v_fma_f64 v[48:49], v[48:49], v[135:136], -v[151:152]
	s_wait_loadcnt 0x1
	v_mul_f64_e32 v[133:134], v[52:53], v[78:79]
	v_fma_f64 v[68:69], v[68:69], v[135:136], v[137:138]
	s_wait_loadcnt 0x0
	v_mul_f64_e32 v[135:136], v[56:57], v[74:75]
	v_mul_f64_e32 v[78:79], v[28:29], v[78:79]
	;; [unrolled: 1-line block ×3, first 2 shown]
	v_fma_f64 v[64:65], v[64:65], v[88:89], v[157:158]
	v_fma_f64 v[60:61], v[60:61], v[92:93], v[161:162]
	;; [unrolled: 1-line block ×3, first 2 shown]
	v_fma_f64 v[44:45], v[44:45], v[88:89], -v[90:91]
	v_fma_f64 v[36:37], v[36:37], v[92:93], -v[94:95]
	v_mov_b32_e32 v95, v144
	v_fma_f64 v[88:89], v[112:113], v[96:97], -v[98:99]
	v_mad_co_u64_u32 v[93:94], null, s8, v175, 0
	v_mov_b32_e32 v92, v140
	v_mad_co_u64_u32 v[153:154], null, s8, v108, 0
	v_add_nc_u32_e32 v167, 0x21c, v116
	v_mad_co_u64_u32 v[155:156], null, s8, v165, 0
	s_delay_alu instid0(VALU_DEP_4)
	v_mad_co_u64_u32 v[96:97], null, s9, v116, v[92:93]
	v_add_nc_u32_e32 v166, 0x195, v116
	v_mov_b32_e32 v92, v154
	v_mad_co_u64_u32 v[119:120], null, s8, v167, 0
	v_dual_mov_b32 v97, v156 :: v_dual_add_nc_u32 v168, 0x2a3, v116
	v_fma_f64 v[38:39], v[38:39], v[84:85], -v[123:124]
	v_fma_f64 v[62:63], v[62:63], v[84:85], v[86:87]
	v_mad_co_u64_u32 v[84:85], null, s9, v118, v[95:96]
	v_fma_f64 v[30:31], v[30:31], v[80:81], -v[125:126]
	v_add_f64_e32 v[85:86], v[66:67], v[58:59]
	v_fma_f64 v[54:55], v[54:55], v[80:81], v[82:83]
	v_mov_b32_e32 v81, v120
	v_add_f64_e32 v[98:99], v[42:43], v[70:71]
	v_add_f64_e32 v[112:113], v[46:47], v[34:35]
	;; [unrolled: 1-line block ×3, first 2 shown]
	v_fma_f64 v[28:29], v[28:29], v[76:77], -v[133:134]
	v_fma_f64 v[32:33], v[32:33], v[72:73], -v[135:136]
	v_fma_f64 v[52:53], v[52:53], v[76:77], v[78:79]
	v_fma_f64 v[56:57], v[56:57], v[72:73], v[74:75]
	v_mad_co_u64_u32 v[159:160], null, s8, v166, 0
	v_add_f64_e32 v[77:78], v[60:61], v[68:69]
	v_add_f64_e32 v[125:126], v[64:65], v[114:115]
	v_add_f64_e32 v[133:134], v[36:37], v[48:49]
	v_mad_co_u64_u32 v[121:122], null, s8, v168, 0
	v_add_f64_e32 v[135:136], v[44:45], v[88:89]
	v_dual_mov_b32 v80, v160 :: v_dual_add_nc_u32 v169, 0x32a, v116
	v_add_nc_u32_e32 v171, 0x14d, v116
	v_add_f64_e64 v[34:35], v[46:47], -v[34:35]
	v_add_f64_e64 v[58:59], v[66:67], -v[58:59]
	v_mov_b32_e32 v82, v122
	v_mad_co_u64_u32 v[127:128], null, s8, v169, 0
	v_mad_co_u64_u32 v[131:132], null, s8, v171, 0
	v_add_nc_u32_e32 v170, 0xc6, v116
	v_add_nc_u32_e32 v172, 0x1d4, v116
	v_add_f64_e64 v[50:51], v[26:27], -v[50:51]
	v_add_f64_e64 v[42:43], v[42:43], -v[70:71]
	v_mov_b32_e32 v83, v128
	v_mad_co_u64_u32 v[129:130], null, s8, v170, 0
	v_mov_b32_e32 v73, v132
	v_mad_co_u64_u32 v[137:138], null, s8, v172, 0
	v_add_nc_u32_e32 v173, 0x25b, v116
	v_add_f64_e64 v[46:47], v[30:31], -v[38:39]
	v_add_f64_e32 v[30:31], v[30:31], v[38:39]
	v_mov_b32_e32 v72, v130
	v_add_f64_e32 v[38:39], v[54:55], v[62:63]
	v_add_f64_e64 v[54:55], v[54:55], -v[62:63]
	v_add_f64_e32 v[66:67], v[85:86], v[98:99]
	v_add_f64_e32 v[70:71], v[112:113], v[123:124]
	v_mov_b32_e32 v74, v138
	v_mad_co_u64_u32 v[26:27], null, s9, v169, v[83:84]
	v_mad_co_u64_u32 v[62:63], null, s9, v170, v[72:73]
	v_add_f64_e64 v[36:37], v[36:37], -v[48:49]
	v_add_f64_e64 v[48:49], v[32:33], -v[28:29]
	v_add_f64_e32 v[27:28], v[32:33], v[28:29]
	v_add_f64_e32 v[32:33], v[56:57], v[52:53]
	v_add_f64_e64 v[52:53], v[56:57], -v[52:53]
	v_add_f64_e64 v[56:57], v[60:61], -v[68:69]
	;; [unrolled: 1-line block ×3, first 2 shown]
	v_mad_co_u64_u32 v[63:64], null, s9, v171, v[73:74]
	v_add_f64_e32 v[64:65], v[77:78], v[125:126]
	v_add_f64_e32 v[72:73], v[133:134], v[135:136]
	v_mad_co_u64_u32 v[141:142], null, s8, v173, 0
	v_add_f64_e64 v[44:45], v[44:45], -v[88:89]
	v_dual_mov_b32 v79, v94 :: v_dual_add_nc_u32 v174, 0x2e2, v116
	v_mad_co_u64_u32 v[145:146], null, s9, v166, v[80:81]
	v_mad_co_u64_u32 v[80:81], null, s9, v167, v[81:82]
	v_mov_b32_e32 v75, v142
	s_delay_alu instid0(VALU_DEP_4) | instskip(SKIP_2) | instid1(VALU_DEP_4)
	v_mad_co_u64_u32 v[90:91], null, s8, v174, 0
	v_mov_b32_e32 v144, v84
	v_mad_co_u64_u32 v[81:82], null, s9, v168, v[82:83]
	v_mad_co_u64_u32 v[68:69], null, s9, v172, v[74:75]
	;; [unrolled: 1-line block ×3, first 2 shown]
	v_mov_b32_e32 v76, v91
	v_mad_co_u64_u32 v[91:92], null, s9, v108, v[92:93]
	v_mad_co_u64_u32 v[82:83], null, s9, v175, v[79:80]
	s_delay_alu instid0(VALU_DEP_3)
	v_mad_co_u64_u32 v[74:75], null, s9, v173, v[75:76]
	v_mad_co_u64_u32 v[75:76], null, s9, v174, v[76:77]
	v_mov_b32_e32 v140, v96
	v_mov_b32_e32 v154, v91
	;; [unrolled: 1-line block ×3, first 2 shown]
	v_add_f64_e64 v[87:88], v[46:47], -v[34:35]
	v_add_f64_e64 v[95:96], v[98:99], -v[38:39]
	;; [unrolled: 1-line block ×3, first 2 shown]
	v_mov_b32_e32 v91, v75
	v_lshlrev_b64_e32 v[83:84], 4, v[139:140]
	v_add_f64_e64 v[139:140], v[54:55], -v[58:59]
	v_add_f64_e64 v[145:146], v[34:35], -v[50:51]
	;; [unrolled: 1-line block ×3, first 2 shown]
	v_add_f64_e32 v[66:67], v[38:39], v[66:67]
	v_add_f64_e32 v[69:70], v[30:31], v[70:71]
	v_mov_b32_e32 v120, v80
	v_lshlrev_b64_e32 v[79:80], 4, v[143:144]
	v_add_f64_e64 v[38:39], v[38:39], -v[85:86]
	v_add_f64_e64 v[143:144], v[30:31], -v[112:113]
	;; [unrolled: 1-line block ×6, first 2 shown]
	v_mov_b32_e32 v130, v62
	v_mov_b32_e32 v132, v63
	v_add_f64_e32 v[62:63], v[32:33], v[64:65]
	v_add_f64_e64 v[32:33], v[32:33], -v[77:78]
	v_add_f64_e32 v[64:65], v[27:28], v[72:73]
	v_add_f64_e64 v[161:162], v[36:37], -v[44:45]
	v_add_f64_e64 v[163:164], v[56:57], -v[60:61]
	;; [unrolled: 1-line block ×3, first 2 shown]
	v_mov_b32_e32 v156, v94
	v_mov_b32_e32 v122, v81
	;; [unrolled: 1-line block ×5, first 2 shown]
	v_lshlrev_b64_e32 v[73:74], 4, v[153:154]
	v_add_f64_e32 v[34:35], v[46:47], v[34:35]
	v_add_f64_e64 v[46:47], v[50:51], -v[46:47]
	v_add_f64_e32 v[58:59], v[54:55], v[58:59]
	v_add_f64_e64 v[54:55], v[42:43], -v[54:55]
	v_add_f64_e32 v[36:37], v[48:49], v[36:37]
	v_add_f64_e32 v[56:57], v[52:53], v[56:57]
	v_mul_f64_e32 v[81:82], s[14:15], v[87:88]
	v_mul_f64_e32 v[87:88], s[16:17], v[95:96]
	;; [unrolled: 1-line block ×3, first 2 shown]
	v_add_f64_e64 v[85:86], v[85:86], -v[98:99]
	v_add_f64_e64 v[97:98], v[112:113], -v[123:124]
	v_mul_f64_e32 v[114:115], s[14:15], v[139:140]
	v_mul_f64_e32 v[139:140], s[26:27], v[145:146]
	;; [unrolled: 1-line block ×3, first 2 shown]
	v_add_f64_e32 v[26:27], v[40:41], v[66:67]
	v_add_f64_e32 v[24:25], v[24:25], v[69:70]
	v_lshlrev_b64_e32 v[75:76], 4, v[155:156]
	v_add_f64_e64 v[48:49], v[44:45], -v[48:49]
	v_mul_f64_e32 v[40:41], s[12:13], v[38:39]
	v_mul_f64_e32 v[112:113], s[12:13], v[143:144]
	v_add_f64_e64 v[52:53], v[60:61], -v[52:53]
	v_mul_f64_e32 v[123:124], s[14:15], v[29:30]
	v_mul_f64_e32 v[149:150], s[16:17], v[149:150]
	;; [unrolled: 1-line block ×4, first 2 shown]
	v_add_f64_e64 v[77:78], v[77:78], -v[125:126]
	v_add_f64_e32 v[30:31], v[110:111], v[62:63]
	v_mul_f64_e32 v[110:111], s[12:13], v[32:33]
	v_add_f64_e32 v[28:29], v[106:107], v[64:65]
	v_mul_f64_e32 v[157:158], s[26:27], v[161:162]
	v_mul_f64_e32 v[165:166], s[26:27], v[163:164]
	v_add_f64_e64 v[106:107], v[133:134], -v[135:136]
	v_mul_f64_e32 v[125:126], s[12:13], v[71:72]
	v_mov_b32_e32 v138, v68
	v_lshlrev_b64_e32 v[118:119], 4, v[119:120]
	v_lshlrev_b64_e32 v[120:121], 4, v[121:122]
	v_add_co_u32 v83, vcc_lo, v100, v83
	v_add_f64_e32 v[34:35], v[34:35], v[50:51]
	v_lshlrev_b64_e32 v[133:134], 4, v[137:138]
	v_add_f64_e32 v[42:43], v[58:59], v[42:43]
	s_wait_alu 0xfffd
	v_add_co_ci_u32_e32 v84, vcc_lo, v101, v84, vcc_lo
	v_add_f64_e32 v[36:37], v[36:37], v[44:45]
	v_add_f64_e32 v[44:45], v[56:57], v[60:61]
	v_fma_f64 v[50:51], v[46:47], s[6:7], v[81:82]
	v_fma_f64 v[38:39], v[38:39], s[12:13], v[87:88]
	;; [unrolled: 1-line block ×3, first 2 shown]
	v_fma_f64 v[60:61], v[145:146], s[26:27], -v[81:82]
	v_fma_f64 v[58:59], v[54:55], s[6:7], v[114:115]
	s_wait_alu 0xfffe
	v_fma_f64 v[46:47], v[46:47], s[24:25], -v[139:140]
	v_fma_f64 v[54:55], v[54:55], s[24:25], -v[153:154]
	;; [unrolled: 1-line block ×5, first 2 shown]
	v_fma_f64 v[66:67], v[66:67], s[18:19], v[26:27]
	v_fma_f64 v[68:69], v[69:70], s[18:19], v[24:25]
	v_fma_f64 v[40:41], v[85:86], s[20:21], -v[40:41]
	v_fma_f64 v[85:86], v[97:98], s[20:21], -v[112:113]
	v_fma_f64 v[97:98], v[48:49], s[6:7], v[123:124]
	v_fma_f64 v[32:33], v[32:33], s[12:13], v[149:150]
	;; [unrolled: 1-line block ×4, first 2 shown]
	v_fma_f64 v[114:115], v[161:162], s[26:27], -v[123:124]
	v_fma_f64 v[62:63], v[62:63], s[18:19], v[30:31]
	v_fma_f64 v[137:138], v[77:78], s[22:23], -v[149:150]
	v_fma_f64 v[77:78], v[77:78], s[20:21], -v[110:111]
	v_fma_f64 v[64:65], v[64:65], s[18:19], v[28:29]
	v_fma_f64 v[48:49], v[48:49], s[24:25], -v[157:158]
	v_fma_f64 v[52:53], v[52:53], s[24:25], -v[165:166]
	;; [unrolled: 1-line block ×5, first 2 shown]
	v_lshlrev_b64_e32 v[89:90], 4, v[90:91]
	v_lshlrev_b64_e32 v[91:92], 4, v[93:94]
	v_add_co_u32 v93, vcc_lo, v100, v79
	s_wait_alu 0xfffd
	v_add_co_ci_u32_e32 v94, vcc_lo, v101, v80, vcc_lo
	v_add_co_u32 v124, vcc_lo, v100, v73
	v_lshlrev_b64_e32 v[135:136], 4, v[141:142]
	v_lshlrev_b64_e32 v[159:160], 4, v[159:160]
	v_fma_f64 v[72:73], v[34:35], s[2:3], v[50:51]
	s_wait_alu 0xfffd
	v_add_co_ci_u32_e32 v125, vcc_lo, v101, v74, vcc_lo
	v_lshlrev_b64_e32 v[127:128], 4, v[127:128]
	v_fma_f64 v[58:59], v[42:43], s[2:3], v[58:59]
	v_fma_f64 v[50:51], v[34:35], s[2:3], v[46:47]
	;; [unrolled: 1-line block ×5, first 2 shown]
	v_lshlrev_b64_e32 v[129:130], 4, v[129:130]
	v_add_f64_e32 v[79:80], v[38:39], v[66:67]
	v_add_f64_e32 v[56:57], v[56:57], v[68:69]
	;; [unrolled: 1-line block ×6, first 2 shown]
	v_fma_f64 v[85:86], v[36:37], s[2:3], v[97:98]
	v_fma_f64 v[95:96], v[44:45], s[2:3], v[112:113]
	;; [unrolled: 1-line block ×3, first 2 shown]
	v_add_f64_e32 v[139:140], v[32:33], v[62:63]
	v_add_f64_e32 v[137:138], v[137:138], v[62:63]
	;; [unrolled: 1-line block ×4, first 2 shown]
	v_fma_f64 v[97:98], v[36:37], s[2:3], v[48:49]
	v_fma_f64 v[114:115], v[44:45], s[2:3], v[52:53]
	v_add_f64_e32 v[110:111], v[110:111], v[64:65]
	v_fma_f64 v[122:123], v[44:45], s[2:3], v[122:123]
	v_add_f64_e32 v[64:65], v[106:107], v[64:65]
	v_add_co_u32 v106, vcc_lo, v100, v75
	s_wait_alu 0xfffd
	v_add_co_ci_u32_e32 v107, vcc_lo, v101, v76, vcc_lo
	v_add_co_u32 v143, vcc_lo, v100, v159
	s_wait_alu 0xfffd
	v_add_co_ci_u32_e32 v144, vcc_lo, v101, v160, vcc_lo
	;; [unrolled: 3-line block ×4, first 2 shown]
	v_lshlrev_b64_e32 v[131:132], 4, v[131:132]
	v_add_co_u32 v126, vcc_lo, v100, v127
	s_wait_alu 0xfffd
	v_add_co_ci_u32_e32 v127, vcc_lo, v101, v128, vcc_lo
	v_add_f64_e32 v[52:53], v[58:59], v[56:57]
	v_add_f64_e32 v[38:39], v[50:51], v[81:82]
	v_add_f64_e64 v[36:37], v[87:88], -v[54:55]
	v_add_f64_e32 v[48:49], v[54:55], v[87:88]
	v_add_f64_e64 v[54:55], v[79:80], -v[72:73]
	v_add_f64_e64 v[50:51], v[81:82], -v[50:51]
	;; [unrolled: 1-line block ×3, first 2 shown]
	v_add_f64_e32 v[46:47], v[46:47], v[66:67]
	v_add_f64_e64 v[44:45], v[68:69], -v[60:61]
	v_add_f64_e32 v[40:41], v[60:61], v[68:69]
	v_add_f64_e32 v[34:35], v[72:73], v[79:80]
	v_add_f64_e64 v[32:33], v[56:57], -v[58:59]
	v_add_f64_e64 v[66:67], v[77:78], -v[112:113]
	v_add_f64_e32 v[70:71], v[112:113], v[77:78]
	v_add_f64_e64 v[78:79], v[139:140], -v[85:86]
	v_add_f64_e32 v[76:77], v[95:96], v[141:142]
	;; [unrolled: 2-line block ×4, first 2 shown]
	v_add_f64_e32 v[62:63], v[97:98], v[137:138]
	v_add_f64_e64 v[60:61], v[110:111], -v[114:115]
	v_add_f64_e32 v[58:59], v[85:86], v[139:140]
	v_add_f64_e64 v[56:57], v[141:142], -v[95:96]
	v_add_co_u32 v80, vcc_lo, v100, v129
	s_wait_alu 0xfffd
	v_add_co_ci_u32_e32 v81, vcc_lo, v101, v130, vcc_lo
	v_add_co_u32 v85, vcc_lo, v100, v131
	s_wait_alu 0xfffd
	v_add_co_ci_u32_e32 v86, vcc_lo, v101, v132, vcc_lo
	;; [unrolled: 3-line block ×6, first 2 shown]
	s_clause 0xd
	global_store_b128 v[83:84], v[24:27], off
	global_store_b128 v[124:125], v[52:55], off
	global_store_b128 v[106:107], v[48:51], off
	global_store_b128 v[143:144], v[44:47], off
	global_store_b128 v[118:119], v[40:43], off
	global_store_b128 v[120:121], v[36:39], off
	global_store_b128 v[126:127], v[32:35], off
	global_store_b128 v[93:94], v[28:31], off
	global_store_b128 v[80:81], v[76:79], off
	global_store_b128 v[85:86], v[72:75], off
	global_store_b128 v[87:88], v[68:71], off
	global_store_b128 v[95:96], v[64:67], off
	global_store_b128 v[89:90], v[60:63], off
	global_store_b128 v[91:92], v[56:59], off
	s_and_b32 exec_lo, exec_lo, s0
	s_cbranch_execz .LBB0_20
; %bb.19:
	v_add_nc_u32_e32 v24, -9, v116
	v_add_nc_u32_e32 v64, 0x3a8, v116
	v_add_nc_u32_e32 v62, 0x29a, v116
	;; [unrolled: 1-line block ×4, first 2 shown]
	v_cndmask_b32_e64 v24, v24, v117, s0
	s_delay_alu instid0(VALU_DEP_1) | instskip(NEXT) | instid1(VALU_DEP_1)
	v_mul_i32_i24_e32 v108, 6, v24
	v_lshlrev_b64_e32 v[24:25], 4, v[108:109]
	s_delay_alu instid0(VALU_DEP_1) | instskip(SKIP_1) | instid1(VALU_DEP_2)
	v_add_co_u32 v44, vcc_lo, s4, v24
	s_wait_alu 0xfffd
	v_add_co_ci_u32_e32 v45, vcc_lo, s5, v25, vcc_lo
	s_clause 0x5
	global_load_b128 v[24:27], v[44:45], off offset:2112
	global_load_b128 v[28:31], v[44:45], off offset:2128
	;; [unrolled: 1-line block ×6, first 2 shown]
	s_wait_loadcnt 0x5
	v_mul_f64_e32 v[48:49], v[20:21], v[26:27]
	v_mul_f64_e32 v[26:27], v[8:9], v[26:27]
	s_wait_loadcnt 0x4
	v_mul_f64_e32 v[50:51], v[22:23], v[30:31]
	v_mul_f64_e32 v[30:31], v[10:11], v[30:31]
	;; [unrolled: 3-line block ×6, first 2 shown]
	v_fma_f64 v[8:9], v[8:9], v[24:25], -v[48:49]
	v_fma_f64 v[20:21], v[20:21], v[24:25], v[26:27]
	v_fma_f64 v[10:11], v[10:11], v[28:29], -v[50:51]
	v_fma_f64 v[22:23], v[22:23], v[28:29], v[30:31]
	;; [unrolled: 2-line block ×6, first 2 shown]
	v_mad_co_u64_u32 v[48:49], null, s8, v64, 0
	v_add_nc_u32_e32 v59, 0x105, v116
	v_add_nc_u32_e32 v60, 0x18c, v116
	v_add_f64_e32 v[24:25], v[8:9], v[6:7]
	v_add_f64_e32 v[26:27], v[20:21], v[18:19]
	;; [unrolled: 1-line block ×4, first 2 shown]
	v_add_f64_e64 v[4:5], v[10:11], -v[4:5]
	v_add_f64_e64 v[10:11], v[22:23], -v[16:17]
	v_add_f64_e32 v[16:17], v[0:1], v[2:3]
	v_add_f64_e32 v[22:23], v[12:13], v[14:15]
	v_add_f64_e64 v[0:1], v[2:3], -v[0:1]
	v_add_f64_e64 v[2:3], v[14:15], -v[12:13]
	;; [unrolled: 1-line block ×4, first 2 shown]
	v_add_f64_e32 v[12:13], v[28:29], v[24:25]
	v_add_f64_e32 v[14:15], v[30:31], v[26:27]
	v_add_f64_e64 v[18:19], v[24:25], -v[16:17]
	v_add_f64_e64 v[20:21], v[26:27], -v[22:23]
	;; [unrolled: 1-line block ×6, first 2 shown]
	v_add_f64_e32 v[4:5], v[0:1], v[4:5]
	v_add_f64_e32 v[10:11], v[2:3], v[10:11]
	v_add_f64_e64 v[40:41], v[6:7], -v[0:1]
	v_add_f64_e64 v[42:43], v[8:9], -v[2:3]
	;; [unrolled: 1-line block ×4, first 2 shown]
	v_add_f64_e32 v[12:13], v[16:17], v[12:13]
	v_add_f64_e32 v[14:15], v[22:23], v[14:15]
	v_add_f64_e64 v[16:17], v[16:17], -v[28:29]
	v_add_f64_e64 v[22:23], v[22:23], -v[30:31]
	v_mul_f64_e32 v[18:19], s[16:17], v[18:19]
	v_mul_f64_e32 v[20:21], s[16:17], v[20:21]
	;; [unrolled: 1-line block ×6, first 2 shown]
	v_add_f64_e32 v[4:5], v[4:5], v[6:7]
	v_add_f64_e32 v[6:7], v[10:11], v[8:9]
	;; [unrolled: 1-line block ×4, first 2 shown]
	v_mul_f64_e32 v[28:29], s[12:13], v[16:17]
	v_mul_f64_e32 v[30:31], s[12:13], v[22:23]
	v_fma_f64 v[8:9], v[16:17], s[12:13], v[18:19]
	v_fma_f64 v[10:11], v[22:23], s[12:13], v[20:21]
	;; [unrolled: 1-line block ×4, first 2 shown]
	v_fma_f64 v[32:33], v[36:37], s[26:27], -v[32:33]
	v_fma_f64 v[34:35], v[38:39], s[26:27], -v[34:35]
	;; [unrolled: 1-line block ×6, first 2 shown]
	v_mad_co_u64_u32 v[44:45], null, s8, v62, 0
	v_add_nc_u32_e32 v58, 0x7e, v116
	v_mad_co_u64_u32 v[42:43], null, s8, v61, 0
	v_mad_co_u64_u32 v[46:47], null, s8, v63, 0
	v_fma_f64 v[12:13], v[12:13], s[18:19], v[0:1]
	v_fma_f64 v[14:15], v[14:15], s[18:19], v[2:3]
	v_fma_f64 v[24:25], v[24:25], s[20:21], -v[28:29]
	v_fma_f64 v[26:27], v[26:27], s[20:21], -v[30:31]
	v_mad_co_u64_u32 v[30:31], null, s8, v59, 0
	v_fma_f64 v[50:51], v[4:5], s[2:3], v[16:17]
	v_fma_f64 v[52:53], v[6:7], s[2:3], v[22:23]
	v_fma_f64 v[22:23], v[4:5], s[2:3], v[32:33]
	v_fma_f64 v[16:17], v[6:7], s[2:3], v[34:35]
	v_fma_f64 v[32:33], v[4:5], s[2:3], v[36:37]
	v_fma_f64 v[34:35], v[6:7], s[2:3], v[38:39]
	v_mov_b32_e32 v7, v45
	v_mad_co_u64_u32 v[28:29], null, s8, v58, 0
	v_mov_b32_e32 v4, v31
	v_mov_b32_e32 v6, v43
	v_add_f64_e32 v[36:37], v[8:9], v[12:13]
	v_add_f64_e32 v[38:39], v[10:11], v[14:15]
	;; [unrolled: 1-line block ×6, first 2 shown]
	v_mov_b32_e32 v9, v49
	v_mad_co_u64_u32 v[40:41], null, s8, v60, 0
	v_mad_co_u64_u32 v[10:11], null, s9, v58, v[29:30]
	s_delay_alu instid0(VALU_DEP_2) | instskip(NEXT) | instid1(VALU_DEP_2)
	v_dual_mov_b32 v8, v47 :: v_dual_mov_b32 v5, v41
	v_mov_b32_e32 v29, v10
	s_delay_alu instid0(VALU_DEP_2)
	v_mad_co_u64_u32 v[11:12], null, s9, v59, v[4:5]
	v_mad_co_u64_u32 v[4:5], null, s9, v60, v[5:6]
	;; [unrolled: 1-line block ×5, first 2 shown]
	v_mov_b32_e32 v31, v11
	v_mad_co_u64_u32 v[8:9], null, s9, v64, v[9:10]
	v_mov_b32_e32 v41, v4
	v_mov_b32_e32 v43, v5
	;; [unrolled: 1-line block ×4, first 2 shown]
	v_lshlrev_b64_e32 v[28:29], 4, v[28:29]
	v_add_f64_e32 v[4:5], v[52:53], v[36:37]
	v_add_f64_e64 v[6:7], v[38:39], -v[50:51]
	v_mov_b32_e32 v49, v8
	v_add_f64_e32 v[8:9], v[34:35], v[54:55]
	v_add_f64_e64 v[10:11], v[56:57], -v[32:33]
	v_add_f64_e64 v[12:13], v[18:19], -v[16:17]
	v_add_f64_e32 v[14:15], v[22:23], v[20:21]
	v_add_f64_e32 v[16:17], v[16:17], v[18:19]
	v_add_f64_e64 v[18:19], v[20:21], -v[22:23]
	v_add_f64_e64 v[20:21], v[54:55], -v[34:35]
	v_add_f64_e32 v[22:23], v[32:33], v[56:57]
	v_add_f64_e64 v[24:25], v[36:37], -v[52:53]
	v_add_f64_e32 v[26:27], v[50:51], v[38:39]
	v_lshlrev_b64_e32 v[30:31], 4, v[30:31]
	v_lshlrev_b64_e32 v[40:41], 4, v[40:41]
	v_add_co_u32 v28, vcc_lo, v100, v28
	s_wait_alu 0xfffd
	v_add_co_ci_u32_e32 v29, vcc_lo, v101, v29, vcc_lo
	v_lshlrev_b64_e32 v[42:43], 4, v[42:43]
	v_add_co_u32 v30, vcc_lo, v100, v30
	s_wait_alu 0xfffd
	v_add_co_ci_u32_e32 v31, vcc_lo, v101, v31, vcc_lo
	;; [unrolled: 4-line block ×5, first 2 shown]
	v_add_co_u32 v34, vcc_lo, v100, v34
	s_wait_alu 0xfffd
	v_add_co_ci_u32_e32 v35, vcc_lo, v101, v35, vcc_lo
	v_add_co_u32 v36, vcc_lo, v100, v36
	s_wait_alu 0xfffd
	v_add_co_ci_u32_e32 v37, vcc_lo, v101, v37, vcc_lo
	s_clause 0x6
	global_store_b128 v[28:29], v[0:3], off
	global_store_b128 v[30:31], v[4:7], off
	;; [unrolled: 1-line block ×7, first 2 shown]
.LBB0_20:
	s_nop 0
	s_sendmsg sendmsg(MSG_DEALLOC_VGPRS)
	s_endpgm
	.section	.rodata,"a",@progbits
	.p2align	6, 0x0
	.amdhsa_kernel fft_rtc_fwd_len945_factors_3_3_3_5_7_wgs_63_tpt_63_halfLds_dp_ip_CI_sbrr_dirReg
		.amdhsa_group_segment_fixed_size 0
		.amdhsa_private_segment_fixed_size 0
		.amdhsa_kernarg_size 88
		.amdhsa_user_sgpr_count 2
		.amdhsa_user_sgpr_dispatch_ptr 0
		.amdhsa_user_sgpr_queue_ptr 0
		.amdhsa_user_sgpr_kernarg_segment_ptr 1
		.amdhsa_user_sgpr_dispatch_id 0
		.amdhsa_user_sgpr_private_segment_size 0
		.amdhsa_wavefront_size32 1
		.amdhsa_uses_dynamic_stack 0
		.amdhsa_enable_private_segment 0
		.amdhsa_system_sgpr_workgroup_id_x 1
		.amdhsa_system_sgpr_workgroup_id_y 0
		.amdhsa_system_sgpr_workgroup_id_z 0
		.amdhsa_system_sgpr_workgroup_info 0
		.amdhsa_system_vgpr_workitem_id 0
		.amdhsa_next_free_vgpr 176
		.amdhsa_next_free_sgpr 35
		.amdhsa_reserve_vcc 1
		.amdhsa_float_round_mode_32 0
		.amdhsa_float_round_mode_16_64 0
		.amdhsa_float_denorm_mode_32 3
		.amdhsa_float_denorm_mode_16_64 3
		.amdhsa_fp16_overflow 0
		.amdhsa_workgroup_processor_mode 1
		.amdhsa_memory_ordered 1
		.amdhsa_forward_progress 0
		.amdhsa_round_robin_scheduling 0
		.amdhsa_exception_fp_ieee_invalid_op 0
		.amdhsa_exception_fp_denorm_src 0
		.amdhsa_exception_fp_ieee_div_zero 0
		.amdhsa_exception_fp_ieee_overflow 0
		.amdhsa_exception_fp_ieee_underflow 0
		.amdhsa_exception_fp_ieee_inexact 0
		.amdhsa_exception_int_div_zero 0
	.end_amdhsa_kernel
	.text
.Lfunc_end0:
	.size	fft_rtc_fwd_len945_factors_3_3_3_5_7_wgs_63_tpt_63_halfLds_dp_ip_CI_sbrr_dirReg, .Lfunc_end0-fft_rtc_fwd_len945_factors_3_3_3_5_7_wgs_63_tpt_63_halfLds_dp_ip_CI_sbrr_dirReg
                                        ; -- End function
	.section	.AMDGPU.csdata,"",@progbits
; Kernel info:
; codeLenInByte = 13196
; NumSgprs: 37
; NumVgprs: 176
; ScratchSize: 0
; MemoryBound: 1
; FloatMode: 240
; IeeeMode: 1
; LDSByteSize: 0 bytes/workgroup (compile time only)
; SGPRBlocks: 4
; VGPRBlocks: 21
; NumSGPRsForWavesPerEU: 37
; NumVGPRsForWavesPerEU: 176
; Occupancy: 8
; WaveLimiterHint : 1
; COMPUTE_PGM_RSRC2:SCRATCH_EN: 0
; COMPUTE_PGM_RSRC2:USER_SGPR: 2
; COMPUTE_PGM_RSRC2:TRAP_HANDLER: 0
; COMPUTE_PGM_RSRC2:TGID_X_EN: 1
; COMPUTE_PGM_RSRC2:TGID_Y_EN: 0
; COMPUTE_PGM_RSRC2:TGID_Z_EN: 0
; COMPUTE_PGM_RSRC2:TIDIG_COMP_CNT: 0
	.text
	.p2alignl 7, 3214868480
	.fill 96, 4, 3214868480
	.type	__hip_cuid_352f48c5f1aaa6bf,@object ; @__hip_cuid_352f48c5f1aaa6bf
	.section	.bss,"aw",@nobits
	.globl	__hip_cuid_352f48c5f1aaa6bf
__hip_cuid_352f48c5f1aaa6bf:
	.byte	0                               ; 0x0
	.size	__hip_cuid_352f48c5f1aaa6bf, 1

	.ident	"AMD clang version 19.0.0git (https://github.com/RadeonOpenCompute/llvm-project roc-6.4.0 25133 c7fe45cf4b819c5991fe208aaa96edf142730f1d)"
	.section	".note.GNU-stack","",@progbits
	.addrsig
	.addrsig_sym __hip_cuid_352f48c5f1aaa6bf
	.amdgpu_metadata
---
amdhsa.kernels:
  - .args:
      - .actual_access:  read_only
        .address_space:  global
        .offset:         0
        .size:           8
        .value_kind:     global_buffer
      - .offset:         8
        .size:           8
        .value_kind:     by_value
      - .actual_access:  read_only
        .address_space:  global
        .offset:         16
        .size:           8
        .value_kind:     global_buffer
      - .actual_access:  read_only
        .address_space:  global
        .offset:         24
        .size:           8
        .value_kind:     global_buffer
      - .offset:         32
        .size:           8
        .value_kind:     by_value
      - .actual_access:  read_only
        .address_space:  global
        .offset:         40
        .size:           8
        .value_kind:     global_buffer
      - .actual_access:  read_only
        .address_space:  global
        .offset:         48
        .size:           8
        .value_kind:     global_buffer
      - .offset:         56
        .size:           4
        .value_kind:     by_value
      - .actual_access:  read_only
        .address_space:  global
        .offset:         64
        .size:           8
        .value_kind:     global_buffer
      - .actual_access:  read_only
        .address_space:  global
        .offset:         72
        .size:           8
        .value_kind:     global_buffer
      - .address_space:  global
        .offset:         80
        .size:           8
        .value_kind:     global_buffer
    .group_segment_fixed_size: 0
    .kernarg_segment_align: 8
    .kernarg_segment_size: 88
    .language:       OpenCL C
    .language_version:
      - 2
      - 0
    .max_flat_workgroup_size: 63
    .name:           fft_rtc_fwd_len945_factors_3_3_3_5_7_wgs_63_tpt_63_halfLds_dp_ip_CI_sbrr_dirReg
    .private_segment_fixed_size: 0
    .sgpr_count:     37
    .sgpr_spill_count: 0
    .symbol:         fft_rtc_fwd_len945_factors_3_3_3_5_7_wgs_63_tpt_63_halfLds_dp_ip_CI_sbrr_dirReg.kd
    .uniform_work_group_size: 1
    .uses_dynamic_stack: false
    .vgpr_count:     176
    .vgpr_spill_count: 0
    .wavefront_size: 32
    .workgroup_processor_mode: 1
amdhsa.target:   amdgcn-amd-amdhsa--gfx1201
amdhsa.version:
  - 1
  - 2
...

	.end_amdgpu_metadata
